;; amdgpu-corpus repo=ROCm/rocFFT kind=compiled arch=gfx1030 opt=O3
	.text
	.amdgcn_target "amdgcn-amd-amdhsa--gfx1030"
	.amdhsa_code_object_version 6
	.protected	bluestein_single_back_len1365_dim1_dp_op_CI_CI ; -- Begin function bluestein_single_back_len1365_dim1_dp_op_CI_CI
	.globl	bluestein_single_back_len1365_dim1_dp_op_CI_CI
	.p2align	8
	.type	bluestein_single_back_len1365_dim1_dp_op_CI_CI,@function
bluestein_single_back_len1365_dim1_dp_op_CI_CI: ; @bluestein_single_back_len1365_dim1_dp_op_CI_CI
; %bb.0:
	s_load_dwordx4 s[12:15], s[4:5], 0x28
	v_mul_u32_u24_e32 v1, 0x2d1, v0
	s_mov_b64 s[50:51], s[2:3]
	s_mov_b64 s[48:49], s[0:1]
	v_mov_b32_e32 v8, 0
	s_add_u32 s48, s48, s7
	v_lshrrev_b32_e32 v4, 16, v1
	s_addc_u32 s49, s49, 0
	s_mov_b32 s0, exec_lo
	v_lshl_add_u32 v7, s6, 1, v4
	s_waitcnt lgkmcnt(0)
	v_cmpx_gt_u64_e64 s[12:13], v[7:8]
	s_cbranch_execz .LBB0_23
; %bb.1:
	s_clause 0x1
	s_load_dwordx4 s[8:11], s[4:5], 0x18
	s_load_dwordx2 s[6:7], s[4:5], 0x0
	v_mul_lo_u16 v1, 0x5b, v4
	v_mov_b32_e32 v8, v7
	v_and_b32_e32 v4, 1, v4
	v_sub_nc_u16 v2, v0, v1
	v_and_b32_e32 v183, 0xffff, v2
	v_lshlrev_b32_e32 v3, 4, v183
	s_waitcnt lgkmcnt(0)
	s_load_dwordx4 s[0:3], s[8:9], 0x0
	s_clause 0x1
	global_load_dwordx4 v[80:83], v3, s[6:7]
	global_load_dwordx4 v[84:87], v3, s[6:7] offset:1680
	v_add_co_u32 v44, s8, s6, v3
	v_add_co_ci_u32_e64 v45, null, s7, 0, s8
	buffer_store_dword v8, off, s[48:51], 0 offset:72 ; 4-byte Folded Spill
	buffer_store_dword v9, off, s[48:51], 0 offset:76 ; 4-byte Folded Spill
	v_add_co_u32 v21, vcc_lo, 0x800, v44
	v_add_co_ci_u32_e32 v22, vcc_lo, 0, v45, vcc_lo
	buffer_store_dword v21, off, s[48:51], 0 offset:60 ; 4-byte Folded Spill
	buffer_store_dword v22, off, s[48:51], 0 offset:64 ; 4-byte Folded Spill
	v_add_co_u32 v17, vcc_lo, 0x1000, v44
	v_add_co_ci_u32_e32 v18, vcc_lo, 0, v45, vcc_lo
	v_add_co_u32 v15, vcc_lo, 0x1800, v44
	v_add_co_ci_u32_e32 v16, vcc_lo, 0, v45, vcc_lo
	;; [unrolled: 2-line block ×6, first 2 shown]
	s_waitcnt lgkmcnt(0)
	v_mad_u64_u32 v[0:1], null, s2, v7, 0
	v_mad_u64_u32 v[5:6], null, s0, v183, 0
	s_mul_hi_u32 s6, s0, 0x69
	s_mul_i32 s2, s0, 0x69
	v_mad_u64_u32 v[7:8], null, s3, v7, v[1:2]
	s_mul_i32 s3, s1, 0x69
	s_add_i32 s3, s6, s3
	s_lshl_b64 s[6:7], s[2:3], 4
	v_mad_u64_u32 v[8:9], null, s1, v183, v[6:7]
	v_mov_b32_e32 v1, v7
	v_lshlrev_b64 v[0:1], 4, v[0:1]
	v_mov_b32_e32 v6, v8
	v_lshlrev_b64 v[5:6], 4, v[5:6]
	v_add_co_u32 v0, vcc_lo, s14, v0
	v_add_co_ci_u32_e32 v1, vcc_lo, s15, v1, vcc_lo
	v_add_co_u32 v0, vcc_lo, v0, v5
	v_add_co_ci_u32_e32 v1, vcc_lo, v1, v6, vcc_lo
	;; [unrolled: 2-line block ×5, first 2 shown]
	global_load_dwordx4 v[144:147], v[21:22], off offset:1312
	buffer_store_dword v17, off, s[48:51], 0 offset:52 ; 4-byte Folded Spill
	buffer_store_dword v18, off, s[48:51], 0 offset:56 ; 4-byte Folded Spill
	global_load_dwordx4 v[140:143], v[17:18], off offset:944
	buffer_store_dword v15, off, s[48:51], 0 offset:12 ; 4-byte Folded Spill
	buffer_store_dword v16, off, s[48:51], 0 offset:16 ; 4-byte Folded Spill
	v_add_co_u32 v17, vcc_lo, v13, s6
	v_add_co_ci_u32_e32 v18, vcc_lo, s7, v14, vcc_lo
	s_clause 0x1
	global_load_dwordx4 v[136:139], v[15:16], off offset:576
	global_load_dwordx4 v[120:123], v[11:12], off offset:208
	buffer_store_dword v11, off, s[48:51], 0 offset:4 ; 4-byte Folded Spill
	buffer_store_dword v12, off, s[48:51], 0 offset:8 ; 4-byte Folded Spill
	v_add_co_u32 v21, vcc_lo, v17, s6
	v_add_co_ci_u32_e32 v22, vcc_lo, s7, v18, vcc_lo
	global_load_dwordx4 v[116:119], v[11:12], off offset:1888
	buffer_store_dword v25, off, s[48:51], 0 offset:44 ; 4-byte Folded Spill
	buffer_store_dword v26, off, s[48:51], 0 offset:48 ; 4-byte Folded Spill
	global_load_dwordx4 v[112:115], v[25:26], off offset:1520
	buffer_store_dword v23, off, s[48:51], 0 offset:36 ; 4-byte Folded Spill
	buffer_store_dword v24, off, s[48:51], 0 offset:40 ; 4-byte Folded Spill
	v_add_co_u32 v25, vcc_lo, v21, s6
	v_add_co_ci_u32_e32 v26, vcc_lo, s7, v22, vcc_lo
	v_add_co_u32 v29, vcc_lo, v25, s6
	v_add_co_ci_u32_e32 v30, vcc_lo, s7, v26, vcc_lo
	global_load_dwordx4 v[108:111], v[23:24], off offset:1152
	buffer_store_dword v19, off, s[48:51], 0 offset:20 ; 4-byte Folded Spill
	buffer_store_dword v20, off, s[48:51], 0 offset:24 ; 4-byte Folded Spill
	global_load_dwordx4 v[104:107], v[19:20], off offset:784
	s_clause 0x1
	global_load_dwordx4 v[5:8], v[0:1], off
	global_load_dwordx4 v[9:12], v[9:10], off
	v_add_co_u32 v0, vcc_lo, v29, s6
	v_add_co_ci_u32_e32 v1, vcc_lo, s7, v30, vcc_lo
	s_clause 0x1
	global_load_dwordx4 v[13:16], v[13:14], off
	global_load_dwordx4 v[17:20], v[17:18], off
	v_add_co_u32 v37, vcc_lo, v0, s6
	v_add_co_ci_u32_e32 v38, vcc_lo, s7, v1, vcc_lo
	global_load_dwordx4 v[21:24], v[21:22], off
	v_add_co_u32 v41, vcc_lo, v37, s6
	v_add_co_ci_u32_e32 v42, vcc_lo, s7, v38, vcc_lo
	global_load_dwordx4 v[25:28], v[25:26], off
	v_add_co_u32 v54, vcc_lo, v41, s6
	v_add_co_ci_u32_e32 v55, vcc_lo, s7, v42, vcc_lo
	global_load_dwordx4 v[29:32], v[29:30], off
	global_load_dwordx4 v[33:36], v[0:1], off
	;; [unrolled: 1-line block ×5, first 2 shown]
	buffer_store_dword v56, off, s[48:51], 0 offset:288 ; 4-byte Folded Spill
	buffer_store_dword v57, off, s[48:51], 0 offset:292 ; 4-byte Folded Spill
	v_add_co_u32 v41, vcc_lo, v54, s6
	v_add_co_ci_u32_e32 v42, vcc_lo, s7, v55, vcc_lo
	v_add_co_u32 v58, vcc_lo, 0x4800, v44
	v_add_co_ci_u32_e32 v59, vcc_lo, 0, v45, vcc_lo
	;; [unrolled: 2-line block ×3, first 2 shown]
	v_cmp_eq_u32_e32 vcc_lo, 1, v4
	global_load_dwordx4 v[124:127], v[56:57], off offset:416
	global_load_dwordx4 v[54:57], v[41:42], off
	global_load_dwordx4 v[128:131], v[58:59], off offset:48
	buffer_store_dword v58, off, s[48:51], 0 offset:28 ; 4-byte Folded Spill
	buffer_store_dword v59, off, s[48:51], 0 offset:32 ; 4-byte Folded Spill
	s_waitcnt vmcnt(13)
	v_mul_f64 v[41:42], v[7:8], v[82:83]
	v_cndmask_b32_e64 v4, 0, 0x555, vcc_lo
	v_mul_f64 v[62:63], v[5:6], v[82:83]
	s_waitcnt vmcnt(12)
	v_mul_f64 v[64:65], v[11:12], v[86:87]
	v_mul_f64 v[66:67], v[9:10], v[86:87]
	s_waitcnt vmcnt(11)
	v_mul_f64 v[68:69], v[15:16], v[146:147]
	v_lshlrev_b32_e32 v196, 4, v4
	v_mul_f64 v[70:71], v[13:14], v[146:147]
	s_waitcnt vmcnt(10)
	v_mul_f64 v[72:73], v[19:20], v[142:143]
	v_mul_f64 v[74:75], v[17:18], v[142:143]
	s_waitcnt vmcnt(9)
	v_mul_f64 v[76:77], v[23:24], v[138:139]
	;; [unrolled: 3-line block ×3, first 2 shown]
	v_mul_f64 v[90:91], v[46:47], v[106:107]
	v_add_nc_u32_e32 v182, v196, v3
	v_cmp_gt_u16_e32 vcc_lo, 14, v2
	global_load_dwordx4 v[132:135], v[58:59], off offset:1728
	global_load_dwordx4 v[58:61], v[0:1], off
	v_fma_f64 v[4:5], v[5:6], v[80:81], v[41:42]
	buffer_store_dword v80, off, s[48:51], 0 offset:80 ; 4-byte Folded Spill
	buffer_store_dword v81, off, s[48:51], 0 offset:84 ; 4-byte Folded Spill
	;; [unrolled: 1-line block ×4, first 2 shown]
	v_mul_f64 v[41:42], v[27:28], v[122:123]
	v_mul_f64 v[82:83], v[33:34], v[114:115]
	s_waitcnt vmcnt(4)
	v_mul_f64 v[92:93], v[52:53], v[126:127]
	s_waitcnt vmcnt(2)
	v_mul_f64 v[96:97], v[56:57], v[130:131]
	v_mul_f64 v[94:95], v[50:51], v[126:127]
	;; [unrolled: 1-line block ×3, first 2 shown]
	v_fma_f64 v[6:7], v[7:8], v[80:81], -v[62:63]
	v_fma_f64 v[8:9], v[9:10], v[84:85], v[64:65]
	buffer_store_dword v84, off, s[48:51], 0 offset:96 ; 4-byte Folded Spill
	buffer_store_dword v85, off, s[48:51], 0 offset:100 ; 4-byte Folded Spill
	;; [unrolled: 1-line block ×4, first 2 shown]
	v_mul_f64 v[62:63], v[25:26], v[122:123]
	v_mul_f64 v[64:65], v[31:32], v[118:119]
	;; [unrolled: 1-line block ×4, first 2 shown]
	s_waitcnt vmcnt(0)
	v_mul_f64 v[100:101], v[60:61], v[134:135]
	v_mul_f64 v[102:103], v[58:59], v[134:135]
	v_fma_f64 v[10:11], v[11:12], v[84:85], -v[66:67]
	v_fma_f64 v[12:13], v[13:14], v[144:145], v[68:69]
	buffer_store_dword v144, off, s[48:51], 0 offset:272 ; 4-byte Folded Spill
	buffer_store_dword v145, off, s[48:51], 0 offset:276 ; 4-byte Folded Spill
	;; [unrolled: 1-line block ×4, first 2 shown]
	v_mul_f64 v[66:67], v[29:30], v[118:119]
	v_mul_f64 v[84:85], v[39:40], v[110:111]
	v_fma_f64 v[14:15], v[15:16], v[144:145], -v[70:71]
	v_fma_f64 v[16:17], v[17:18], v[140:141], v[72:73]
	buffer_store_dword v140, off, s[48:51], 0 offset:256 ; 4-byte Folded Spill
	buffer_store_dword v141, off, s[48:51], 0 offset:260 ; 4-byte Folded Spill
	buffer_store_dword v142, off, s[48:51], 0 offset:264 ; 4-byte Folded Spill
	buffer_store_dword v143, off, s[48:51], 0 offset:268 ; 4-byte Folded Spill
	v_fma_f64 v[18:19], v[19:20], v[140:141], -v[74:75]
	v_fma_f64 v[20:21], v[21:22], v[136:137], v[76:77]
	buffer_store_dword v136, off, s[48:51], 0 offset:240 ; 4-byte Folded Spill
	buffer_store_dword v137, off, s[48:51], 0 offset:244 ; 4-byte Folded Spill
	buffer_store_dword v138, off, s[48:51], 0 offset:248 ; 4-byte Folded Spill
	buffer_store_dword v139, off, s[48:51], 0 offset:252 ; 4-byte Folded Spill
	;; [unrolled: 6-line block ×7, first 2 shown]
	v_fma_f64 v[46:47], v[50:51], v[124:125], v[92:93]
	buffer_store_dword v124, off, s[48:51], 0 offset:192 ; 4-byte Folded Spill
	buffer_store_dword v125, off, s[48:51], 0 offset:196 ; 4-byte Folded Spill
	buffer_store_dword v126, off, s[48:51], 0 offset:200 ; 4-byte Folded Spill
	buffer_store_dword v127, off, s[48:51], 0 offset:204 ; 4-byte Folded Spill
	v_fma_f64 v[50:51], v[54:55], v[128:129], v[96:97]
	buffer_store_dword v128, off, s[48:51], 0 offset:208 ; 4-byte Folded Spill
	buffer_store_dword v129, off, s[48:51], 0 offset:212 ; 4-byte Folded Spill
	buffer_store_dword v130, off, s[48:51], 0 offset:216 ; 4-byte Folded Spill
	buffer_store_dword v131, off, s[48:51], 0 offset:220 ; 4-byte Folded Spill
	;; [unrolled: 5-line block ×3, first 2 shown]
	s_load_dwordx2 s[2:3], s[4:5], 0x38
	s_load_dwordx4 s[8:11], s[10:11], 0x0
	ds_write_b128 v182, v[4:7]
	ds_write_b128 v182, v[8:11] offset:1680
	ds_write_b128 v182, v[12:15] offset:3360
	;; [unrolled: 1-line block ×8, first 2 shown]
	v_fma_f64 v[42:43], v[48:49], v[104:105], -v[90:91]
	v_fma_f64 v[48:49], v[52:53], v[124:125], -v[94:95]
	v_fma_f64 v[52:53], v[56:57], v[128:129], -v[98:99]
	v_fma_f64 v[56:57], v[60:61], v[132:133], -v[102:103]
	ds_write_b128 v182, v[40:43] offset:15120
	ds_write_b128 v182, v[46:49] offset:16800
	ds_write_b128 v182, v[50:53] offset:18480
	ds_write_b128 v182, v[54:57] offset:20160
	s_and_saveexec_b32 s12, vcc_lo
	s_cbranch_execz .LBB0_3
; %bb.2:
	v_mad_u64_u32 v[16:17], null, 0xffffb6f0, s0, v[0:1]
	global_load_dwordx4 v[0:3], v[44:45], off offset:1456
	s_clause 0x1
	buffer_load_dword v4, off, s[48:51], 0 offset:60
	buffer_load_dword v5, off, s[48:51], 0 offset:64
	s_mulk_i32 s1, 0xb6f0
	s_sub_i32 s0, s1, s0
	v_add_nc_u32_e32 v17, s0, v17
	v_add_co_u32 v20, s0, v16, s6
	v_add_co_ci_u32_e64 v21, s0, s7, v17, s0
	v_add_co_u32 v24, s0, v20, s6
	v_add_co_ci_u32_e64 v25, s0, s7, v21, s0
	;; [unrolled: 2-line block ×13, first 2 shown]
	s_waitcnt vmcnt(0)
	global_load_dwordx4 v[4:7], v[4:5], off offset:1088
	s_clause 0x1
	buffer_load_dword v8, off, s[48:51], 0 offset:52
	buffer_load_dword v9, off, s[48:51], 0 offset:56
	s_waitcnt vmcnt(0)
	global_load_dwordx4 v[8:11], v[8:9], off offset:720
	s_clause 0x1
	buffer_load_dword v42, off, s[48:51], 0 offset:12
	buffer_load_dword v43, off, s[48:51], 0 offset:16
	global_load_dwordx4 v[16:19], v[16:17], off
	s_waitcnt vmcnt(1)
	global_load_dwordx4 v[12:15], v[42:43], off offset:352
	global_load_dwordx4 v[20:23], v[20:21], off
	global_load_dwordx4 v[24:27], v[24:25], off
	;; [unrolled: 1-line block ×5, first 2 shown]
	global_load_dwordx4 v[40:43], v[42:43], off offset:2032
	s_clause 0x1
	buffer_load_dword v46, off, s[48:51], 0 offset:4
	buffer_load_dword v47, off, s[48:51], 0 offset:8
	global_load_dwordx4 v[50:53], v[50:51], off
	global_load_dwordx4 v[54:57], v[54:55], off
	s_waitcnt vmcnt(11)
	v_mul_f64 v[106:107], v[18:19], v[2:3]
	v_mul_f64 v[2:3], v[16:17], v[2:3]
	s_waitcnt vmcnt(9)
	v_mul_f64 v[108:109], v[22:23], v[6:7]
	v_mul_f64 v[6:7], v[20:21], v[6:7]
	;; [unrolled: 3-line block ×4, first 2 shown]
	s_waitcnt vmcnt(2)
	global_load_dwordx4 v[46:49], v[46:47], off offset:1664
	s_clause 0x1
	buffer_load_dword v58, off, s[48:51], 0 offset:44
	buffer_load_dword v59, off, s[48:51], 0 offset:48
	v_mul_f64 v[116:117], v[34:35], v[42:43]
	v_mul_f64 v[42:43], v[32:33], v[42:43]
	v_fma_f64 v[14:15], v[16:17], v[0:1], v[106:107]
	v_fma_f64 v[16:17], v[18:19], v[0:1], -v[2:3]
	v_fma_f64 v[0:1], v[20:21], v[4:5], v[108:109]
	v_fma_f64 v[2:3], v[22:23], v[4:5], -v[6:7]
	;; [unrolled: 2-line block ×5, first 2 shown]
	s_waitcnt vmcnt(2)
	v_mul_f64 v[106:107], v[38:39], v[48:49]
	s_waitcnt vmcnt(0)
	global_load_dwordx4 v[58:61], v[58:59], off offset:1296
	s_clause 0x1
	buffer_load_dword v62, off, s[48:51], 0 offset:36
	buffer_load_dword v63, off, s[48:51], 0 offset:40
	v_mul_f64 v[48:49], v[36:37], v[48:49]
	v_fma_f64 v[22:23], v[36:37], v[46:47], v[106:107]
	v_fma_f64 v[24:25], v[38:39], v[46:47], -v[48:49]
	s_waitcnt vmcnt(2)
	v_mul_f64 v[108:109], v[52:53], v[60:61]
	s_waitcnt vmcnt(0)
	global_load_dwordx4 v[62:65], v[62:63], off offset:928
	global_load_dwordx4 v[66:69], v[66:67], off
	global_load_dwordx4 v[70:73], v[70:71], off
	s_clause 0x1
	buffer_load_dword v74, off, s[48:51], 0 offset:20
	buffer_load_dword v75, off, s[48:51], 0 offset:24
	v_mul_f64 v[60:61], v[50:51], v[60:61]
	v_fma_f64 v[26:27], v[50:51], v[58:59], v[108:109]
	v_fma_f64 v[28:29], v[52:53], v[58:59], -v[60:61]
	s_waitcnt vmcnt(4)
	v_mul_f64 v[118:119], v[56:57], v[64:65]
	v_mul_f64 v[64:65], v[54:55], v[64:65]
	s_waitcnt vmcnt(0)
	global_load_dwordx4 v[74:77], v[74:75], off offset:560
	s_clause 0x1
	buffer_load_dword v88, off, s[48:51], 0 offset:288
	buffer_load_dword v89, off, s[48:51], 0 offset:292
	s_waitcnt vmcnt(0)
	global_load_dwordx4 v[78:81], v[88:89], off offset:192
	global_load_dwordx4 v[82:85], v[86:87], off
	global_load_dwordx4 v[86:89], v[88:89], off offset:1872
	global_load_dwordx4 v[90:93], v[90:91], off
	s_clause 0x1
	buffer_load_dword v94, off, s[48:51], 0 offset:28
	buffer_load_dword v95, off, s[48:51], 0 offset:32
	v_mul_f64 v[120:121], v[68:69], v[76:77]
	v_mul_f64 v[76:77], v[66:67], v[76:77]
	v_fma_f64 v[30:31], v[54:55], v[62:63], v[118:119]
	v_fma_f64 v[32:33], v[56:57], v[62:63], -v[64:65]
	s_waitcnt vmcnt(0)
	s_clause 0x1
	global_load_dwordx4 v[94:97], v[94:95], off offset:1504
	global_load_dwordx4 v[98:101], v[98:99], off offset:1136
	global_load_dwordx4 v[102:105], v[102:103], off
	v_mul_f64 v[122:123], v[72:73], v[80:81]
	v_mul_f64 v[80:81], v[70:71], v[80:81]
	;; [unrolled: 1-line block ×4, first 2 shown]
	v_fma_f64 v[34:35], v[66:67], v[74:75], v[120:121]
	v_fma_f64 v[36:37], v[68:69], v[74:75], -v[76:77]
	v_fma_f64 v[38:39], v[70:71], v[78:79], v[122:123]
	v_fma_f64 v[40:41], v[72:73], v[78:79], -v[80:81]
	;; [unrolled: 2-line block ×3, first 2 shown]
	s_waitcnt vmcnt(2)
	v_mul_f64 v[126:127], v[92:93], v[96:97]
	v_mul_f64 v[96:97], v[90:91], v[96:97]
	s_waitcnt vmcnt(0)
	v_mul_f64 v[128:129], v[104:105], v[100:101]
	v_mul_f64 v[100:101], v[102:103], v[100:101]
	v_fma_f64 v[50:51], v[90:91], v[94:95], v[126:127]
	v_fma_f64 v[52:53], v[92:93], v[94:95], -v[96:97]
	v_fma_f64 v[54:55], v[102:103], v[98:99], v[128:129]
	v_fma_f64 v[56:57], v[104:105], v[98:99], -v[100:101]
	ds_write_b128 v182, v[14:17] offset:1456
	ds_write_b128 v182, v[0:3] offset:3136
	;; [unrolled: 1-line block ×13, first 2 shown]
.LBB0_3:
	s_or_b32 exec_lo, exec_lo, s12
	s_waitcnt lgkmcnt(0)
	s_waitcnt_vscnt null, 0x0
	s_barrier
	buffer_gl0_inv
	ds_read_b128 v[36:39], v182
	ds_read_b128 v[40:43], v182 offset:1680
	ds_read_b128 v[28:31], v182 offset:3360
	;; [unrolled: 1-line block ×12, first 2 shown]
                                        ; implicit-def: $vgpr60_vgpr61
                                        ; implicit-def: $vgpr64_vgpr65
                                        ; implicit-def: $vgpr68_vgpr69
                                        ; implicit-def: $vgpr72_vgpr73
                                        ; implicit-def: $vgpr76_vgpr77
                                        ; implicit-def: $vgpr80_vgpr81
                                        ; implicit-def: $vgpr92_vgpr93
                                        ; implicit-def: $vgpr96_vgpr97
                                        ; implicit-def: $vgpr100_vgpr101
                                        ; implicit-def: $vgpr104_vgpr105
                                        ; implicit-def: $vgpr112_vgpr113
                                        ; implicit-def: $vgpr116_vgpr117
                                        ; implicit-def: $vgpr120_vgpr121
	s_and_saveexec_b32 s0, vcc_lo
	s_cbranch_execz .LBB0_5
; %bb.4:
	ds_read_b128 v[60:63], v182 offset:1456
	ds_read_b128 v[64:67], v182 offset:3136
	;; [unrolled: 1-line block ×13, first 2 shown]
.LBB0_5:
	s_or_b32 exec_lo, exec_lo, s0
	s_waitcnt lgkmcnt(11)
	v_add_f64 v[48:49], v[38:39], v[42:43]
	v_add_co_u32 v86, s0, 0x5b, v183
	v_add_co_ci_u32_e64 v46, null, 0, 0, s0
	v_add_f64 v[46:47], v[36:37], v[40:41]
	s_mov_b32 s42, 0x4267c47c
	s_mov_b32 s30, 0x42a4c3d2
	;; [unrolled: 1-line block ×16, first 2 shown]
	s_waitcnt lgkmcnt(10)
	v_add_f64 v[48:49], v[48:49], v[30:31]
	s_mov_b32 s18, 0xd0032e0c
	s_mov_b32 s24, 0x93053d00
	;; [unrolled: 1-line block ×4, first 2 shown]
	v_add_f64 v[46:47], v[46:47], v[28:29]
	s_mov_b32 s1, 0x3fbedb7d
	s_mov_b32 s7, 0xbfd6b1d8
	;; [unrolled: 1-line block ×16, first 2 shown]
	s_waitcnt lgkmcnt(9)
	v_add_f64 v[48:49], v[48:49], v[22:23]
	s_load_dwordx2 s[4:5], s[4:5], 0x8
	s_waitcnt lgkmcnt(0)
	s_barrier
	buffer_gl0_inv
	v_add_f64 v[46:47], v[46:47], v[20:21]
	v_add_f64 v[48:49], v[48:49], v[18:19]
	;; [unrolled: 1-line block ×19, first 2 shown]
	v_add_f64 v[42:43], v[42:43], -v[58:59]
	v_add_f64 v[124:125], v[46:47], v[56:57]
	v_add_f64 v[46:47], v[40:41], v[56:57]
	v_add_f64 v[40:41], v[40:41], -v[56:57]
	v_mul_f64 v[50:51], v[42:43], s[42:43]
	v_mul_f64 v[87:88], v[42:43], s[30:31]
	;; [unrolled: 1-line block ×12, first 2 shown]
	v_fma_f64 v[56:57], v[46:47], s[20:21], -v[50:51]
	v_fma_f64 v[50:51], v[46:47], s[20:21], v[50:51]
	v_fma_f64 v[89:90], v[46:47], s[16:17], -v[87:88]
	v_fma_f64 v[87:88], v[46:47], s[16:17], v[87:88]
	;; [unrolled: 2-line block ×6, first 2 shown]
	v_fma_f64 v[84:85], v[48:49], s[20:21], v[58:59]
	v_fma_f64 v[58:59], v[48:49], s[20:21], -v[58:59]
	v_fma_f64 v[110:111], v[48:49], s[16:17], v[108:109]
	v_fma_f64 v[108:109], v[48:49], s[16:17], -v[108:109]
	;; [unrolled: 2-line block ×5, first 2 shown]
	v_add_f64 v[56:57], v[36:37], v[56:57]
	v_add_f64 v[50:51], v[36:37], v[50:51]
	;; [unrolled: 1-line block ×11, first 2 shown]
	v_fma_f64 v[154:155], v[48:49], s[24:25], v[40:41]
	v_add_f64 v[36:37], v[36:37], v[42:43]
	v_fma_f64 v[40:41], v[48:49], s[24:25], -v[40:41]
	v_add_f64 v[42:43], v[30:31], v[34:35]
	v_add_f64 v[30:31], v[30:31], -v[34:35]
	v_add_f64 v[84:85], v[38:39], v[84:85]
	v_add_f64 v[58:59], v[38:39], v[58:59]
	;; [unrolled: 1-line block ×13, first 2 shown]
	v_add_f64 v[28:29], v[28:29], -v[32:33]
	v_mul_f64 v[32:33], v[30:31], s[30:31]
	v_mul_f64 v[46:47], v[28:29], s[30:31]
	v_fma_f64 v[34:35], v[40:41], s[16:17], -v[32:33]
	v_fma_f64 v[32:33], v[40:41], s[16:17], v[32:33]
	v_fma_f64 v[48:49], v[42:43], s[16:17], v[46:47]
	v_fma_f64 v[46:47], v[42:43], s[16:17], -v[46:47]
	v_add_f64 v[32:33], v[32:33], v[50:51]
	v_mul_f64 v[50:51], v[30:31], s[14:15]
	v_add_f64 v[34:35], v[34:35], v[56:57]
	v_add_f64 v[48:49], v[48:49], v[84:85]
	v_add_f64 v[46:47], v[46:47], v[58:59]
	v_mul_f64 v[58:59], v[28:29], s[14:15]
	v_fma_f64 v[56:57], v[40:41], s[6:7], -v[50:51]
	v_fma_f64 v[50:51], v[40:41], s[6:7], v[50:51]
	v_fma_f64 v[84:85], v[42:43], s[6:7], v[58:59]
	v_fma_f64 v[58:59], v[42:43], s[6:7], -v[58:59]
	v_add_f64 v[50:51], v[50:51], v[87:88]
	v_mul_f64 v[87:88], v[30:31], s[28:29]
	v_add_f64 v[56:57], v[56:57], v[89:90]
	v_add_f64 v[84:85], v[84:85], v[110:111]
	v_add_f64 v[58:59], v[58:59], v[108:109]
	;; [unrolled: 10-line block ×3, first 2 shown]
	v_mul_f64 v[132:133], v[28:29], s[38:39]
	v_fma_f64 v[130:131], v[40:41], s[18:19], -v[128:129]
	v_fma_f64 v[128:129], v[40:41], s[18:19], v[128:129]
	v_fma_f64 v[134:135], v[42:43], s[18:19], v[132:133]
	v_fma_f64 v[132:133], v[42:43], s[18:19], -v[132:133]
	v_add_f64 v[128:129], v[128:129], v[136:137]
	v_mul_f64 v[136:137], v[30:31], s[12:13]
	v_add_f64 v[130:131], v[130:131], v[138:139]
	v_mul_f64 v[30:31], v[30:31], s[26:27]
	v_add_f64 v[134:135], v[134:135], v[142:143]
	v_add_f64 v[132:133], v[132:133], v[140:141]
	v_mul_f64 v[140:141], v[28:29], s[12:13]
	v_fma_f64 v[138:139], v[40:41], s[0:1], -v[136:137]
	v_mul_f64 v[28:29], v[28:29], s[26:27]
	v_fma_f64 v[136:137], v[40:41], s[0:1], v[136:137]
	v_fma_f64 v[142:143], v[42:43], s[0:1], v[140:141]
	v_add_f64 v[138:139], v[138:139], v[146:147]
	v_fma_f64 v[146:147], v[42:43], s[20:21], v[28:29]
	v_fma_f64 v[28:29], v[42:43], s[20:21], -v[28:29]
	v_add_f64 v[136:137], v[136:137], v[144:145]
	v_fma_f64 v[144:145], v[40:41], s[20:21], -v[30:31]
	v_fma_f64 v[30:31], v[40:41], s[20:21], v[30:31]
	v_fma_f64 v[140:141], v[42:43], s[0:1], -v[140:141]
	v_add_f64 v[142:143], v[142:143], v[150:151]
	v_add_f64 v[146:147], v[146:147], v[154:155]
	;; [unrolled: 1-line block ×4, first 2 shown]
	v_add_f64 v[22:23], v[22:23], -v[26:27]
	v_add_f64 v[30:31], v[30:31], v[36:37]
	v_add_f64 v[36:37], v[20:21], v[24:25]
	v_add_f64 v[20:21], v[20:21], -v[24:25]
	v_add_f64 v[140:141], v[140:141], v[148:149]
	v_add_f64 v[144:145], v[144:145], v[152:153]
	v_add_f64 v[154:155], v[10:11], v[14:15]
	v_add_f64 v[10:11], v[10:11], -v[14:15]
	v_add_f64 v[152:153], v[8:9], v[12:13]
	v_add_f64 v[8:9], v[8:9], -v[12:13]
	v_mul_f64 v[24:25], v[22:23], s[36:37]
	v_mul_f64 v[12:13], v[10:11], s[22:23]
	v_fma_f64 v[26:27], v[36:37], s[0:1], -v[24:25]
	v_fma_f64 v[24:25], v[36:37], s[0:1], v[24:25]
	v_fma_f64 v[14:15], v[152:153], s[18:19], -v[12:13]
	v_fma_f64 v[12:13], v[152:153], s[18:19], v[12:13]
	v_add_f64 v[26:27], v[26:27], v[34:35]
	v_mul_f64 v[34:35], v[20:21], s[36:37]
	v_add_f64 v[24:25], v[24:25], v[32:33]
	v_fma_f64 v[40:41], v[38:39], s[0:1], v[34:35]
	v_fma_f64 v[32:33], v[38:39], s[0:1], -v[34:35]
	v_mul_f64 v[34:35], v[22:23], s[28:29]
	v_add_f64 v[40:41], v[40:41], v[48:49]
	v_add_f64 v[32:33], v[32:33], v[46:47]
	v_fma_f64 v[42:43], v[36:37], s[24:25], -v[34:35]
	v_fma_f64 v[34:35], v[36:37], s[24:25], v[34:35]
	v_mul_f64 v[46:47], v[20:21], s[28:29]
	v_add_f64 v[42:43], v[42:43], v[56:57]
	v_add_f64 v[34:35], v[34:35], v[50:51]
	v_mul_f64 v[50:51], v[22:23], s[44:45]
	v_fma_f64 v[48:49], v[38:39], s[24:25], v[46:47]
	v_fma_f64 v[46:47], v[38:39], s[24:25], -v[46:47]
	v_fma_f64 v[56:57], v[36:37], s[6:7], -v[50:51]
	v_fma_f64 v[50:51], v[36:37], s[6:7], v[50:51]
	v_add_f64 v[46:47], v[46:47], v[58:59]
	v_mul_f64 v[58:59], v[20:21], s[44:45]
	v_add_f64 v[48:49], v[48:49], v[84:85]
	v_add_f64 v[56:57], v[56:57], v[89:90]
	;; [unrolled: 1-line block ×3, first 2 shown]
	v_mul_f64 v[87:88], v[22:23], s[26:27]
	v_fma_f64 v[84:85], v[38:39], s[6:7], v[58:59]
	v_fma_f64 v[58:59], v[38:39], s[6:7], -v[58:59]
	v_fma_f64 v[89:90], v[36:37], s[20:21], -v[87:88]
	v_fma_f64 v[87:88], v[36:37], s[20:21], v[87:88]
	v_add_f64 v[58:59], v[58:59], v[108:109]
	v_mul_f64 v[108:109], v[20:21], s[26:27]
	v_add_f64 v[84:85], v[84:85], v[110:111]
	v_add_f64 v[89:90], v[89:90], v[130:131]
	;; [unrolled: 1-line block ×3, first 2 shown]
	v_mul_f64 v[128:129], v[22:23], s[30:31]
	v_fma_f64 v[110:111], v[38:39], s[20:21], v[108:109]
	v_fma_f64 v[108:109], v[38:39], s[20:21], -v[108:109]
	v_mul_f64 v[22:23], v[22:23], s[22:23]
	v_fma_f64 v[130:131], v[36:37], s[16:17], -v[128:129]
	v_fma_f64 v[128:129], v[36:37], s[16:17], v[128:129]
	v_add_f64 v[108:109], v[108:109], v[132:133]
	v_mul_f64 v[132:133], v[20:21], s[30:31]
	v_mul_f64 v[20:21], v[20:21], s[22:23]
	v_add_f64 v[110:111], v[110:111], v[134:135]
	v_add_f64 v[130:131], v[130:131], v[138:139]
	;; [unrolled: 1-line block ×3, first 2 shown]
	v_fma_f64 v[136:137], v[36:37], s[18:19], -v[22:23]
	v_fma_f64 v[22:23], v[36:37], s[18:19], v[22:23]
	v_fma_f64 v[138:139], v[38:39], s[18:19], v[20:21]
	v_fma_f64 v[20:21], v[38:39], s[18:19], -v[20:21]
	v_fma_f64 v[134:135], v[38:39], s[16:17], v[132:133]
	v_fma_f64 v[132:133], v[38:39], s[16:17], -v[132:133]
	v_add_f64 v[136:137], v[136:137], v[144:145]
	v_add_f64 v[22:23], v[22:23], v[30:31]
	;; [unrolled: 1-line block ×3, first 2 shown]
	v_add_f64 v[18:19], v[18:19], -v[54:55]
	v_add_f64 v[20:21], v[20:21], v[28:29]
	v_add_f64 v[28:29], v[16:17], v[52:53]
	v_add_f64 v[16:17], v[16:17], -v[52:53]
	v_add_f64 v[132:133], v[132:133], v[140:141]
	v_add_f64 v[138:139], v[138:139], v[146:147]
	;; [unrolled: 1-line block ×3, first 2 shown]
	v_mul_f64 v[36:37], v[18:19], s[14:15]
	v_fma_f64 v[38:39], v[28:29], s[6:7], -v[36:37]
	v_fma_f64 v[36:37], v[28:29], s[6:7], v[36:37]
	v_add_f64 v[26:27], v[38:39], v[26:27]
	v_mul_f64 v[38:39], v[16:17], s[14:15]
	v_add_f64 v[24:25], v[36:37], v[24:25]
	v_fma_f64 v[36:37], v[30:31], s[6:7], -v[38:39]
	v_fma_f64 v[52:53], v[30:31], s[6:7], v[38:39]
	v_add_f64 v[32:33], v[36:37], v[32:33]
	v_mul_f64 v[36:37], v[18:19], s[38:39]
	v_add_f64 v[40:41], v[52:53], v[40:41]
	;; [unrolled: 5-line block ×3, first 2 shown]
	v_fma_f64 v[52:53], v[30:31], s[18:19], v[42:43]
	v_fma_f64 v[36:37], v[30:31], s[18:19], -v[42:43]
	v_mul_f64 v[42:43], v[18:19], s[26:27]
	v_add_f64 v[48:49], v[52:53], v[48:49]
	v_add_f64 v[36:37], v[36:37], v[46:47]
	v_fma_f64 v[46:47], v[28:29], s[20:21], -v[42:43]
	v_fma_f64 v[42:43], v[28:29], s[20:21], v[42:43]
	v_add_f64 v[140:141], v[46:47], v[56:57]
	v_mul_f64 v[46:47], v[16:17], s[26:27]
	v_add_f64 v[144:145], v[42:43], v[50:51]
	v_add_f64 v[56:57], v[12:13], v[24:25]
	v_fma_f64 v[42:43], v[30:31], s[20:21], -v[46:47]
	v_fma_f64 v[52:53], v[30:31], s[20:21], v[46:47]
	v_add_f64 v[146:147], v[42:43], v[58:59]
	v_mul_f64 v[42:43], v[18:19], s[36:37]
	v_add_f64 v[142:143], v[52:53], v[84:85]
	v_add_f64 v[84:85], v[14:15], v[26:27]
	v_mul_f64 v[14:15], v[8:9], s[22:23]
	v_fma_f64 v[46:47], v[28:29], s[0:1], -v[42:43]
	v_fma_f64 v[42:43], v[28:29], s[0:1], v[42:43]
	v_fma_f64 v[12:13], v[154:155], s[18:19], -v[14:15]
	v_add_f64 v[89:90], v[46:47], v[89:90]
	v_mul_f64 v[46:47], v[16:17], s[36:37]
	v_add_f64 v[87:88], v[42:43], v[87:88]
	v_add_f64 v[54:55], v[12:13], v[32:33]
	v_mul_f64 v[12:13], v[10:11], s[12:13]
	v_add_f64 v[32:33], v[2:3], v[6:7]
	v_add_f64 v[2:3], v[2:3], -v[6:7]
	v_fma_f64 v[42:43], v[30:31], s[0:1], -v[46:47]
	v_fma_f64 v[50:51], v[30:31], s[0:1], v[46:47]
	v_add_f64 v[108:109], v[42:43], v[108:109]
	v_mul_f64 v[42:43], v[18:19], s[40:41]
	v_mul_f64 v[18:19], v[18:19], s[34:35]
	v_add_f64 v[110:111], v[50:51], v[110:111]
	v_fma_f64 v[46:47], v[28:29], s[24:25], -v[42:43]
	v_fma_f64 v[42:43], v[28:29], s[24:25], v[42:43]
	v_add_f64 v[130:131], v[46:47], v[130:131]
	v_mul_f64 v[46:47], v[16:17], s[40:41]
	v_add_f64 v[128:129], v[42:43], v[128:129]
	v_mul_f64 v[16:17], v[16:17], s[34:35]
	v_fma_f64 v[42:43], v[30:31], s[24:25], -v[46:47]
	v_fma_f64 v[50:51], v[30:31], s[24:25], v[46:47]
	v_add_f64 v[132:133], v[42:43], v[132:133]
	v_fma_f64 v[42:43], v[28:29], s[16:17], -v[18:19]
	v_add_f64 v[134:135], v[50:51], v[134:135]
	v_fma_f64 v[18:19], v[28:29], s[16:17], v[18:19]
	v_add_f64 v[136:137], v[42:43], v[136:137]
	v_fma_f64 v[42:43], v[30:31], s[16:17], v[16:17]
	v_fma_f64 v[16:17], v[30:31], s[16:17], -v[16:17]
	v_add_f64 v[148:149], v[18:19], v[22:23]
	v_add_f64 v[138:139], v[42:43], v[138:139]
	;; [unrolled: 1-line block ×3, first 2 shown]
	v_fma_f64 v[16:17], v[154:155], s[18:19], v[14:15]
	v_fma_f64 v[14:15], v[152:153], s[0:1], -v[12:13]
	v_fma_f64 v[12:13], v[152:153], s[0:1], v[12:13]
	v_add_f64 v[58:59], v[16:17], v[40:41]
	v_add_f64 v[52:53], v[14:15], v[38:39]
	v_mul_f64 v[14:15], v[8:9], s[12:13]
	v_fma_f64 v[16:17], v[154:155], s[0:1], v[14:15]
	v_add_f64 v[50:51], v[16:17], v[48:49]
	v_add_f64 v[48:49], v[12:13], v[34:35]
	v_fma_f64 v[12:13], v[154:155], s[0:1], -v[14:15]
	v_add_f64 v[34:35], v[0:1], v[4:5]
	v_add_f64 v[0:1], v[0:1], -v[4:5]
	v_mul_f64 v[4:5], v[2:3], s[28:29]
	v_add_f64 v[46:47], v[12:13], v[36:37]
	v_mul_f64 v[12:13], v[10:11], s[30:31]
	v_fma_f64 v[6:7], v[34:35], s[24:25], -v[4:5]
	v_fma_f64 v[4:5], v[34:35], s[24:25], v[4:5]
	v_fma_f64 v[14:15], v[152:153], s[16:17], -v[12:13]
	v_fma_f64 v[12:13], v[152:153], s[16:17], v[12:13]
	v_add_f64 v[42:43], v[14:15], v[140:141]
	v_mul_f64 v[14:15], v[8:9], s[30:31]
	v_add_f64 v[38:39], v[12:13], v[144:145]
	v_fma_f64 v[12:13], v[154:155], s[16:17], -v[14:15]
	v_fma_f64 v[16:17], v[154:155], s[16:17], v[14:15]
	v_add_f64 v[36:37], v[12:13], v[146:147]
	v_mul_f64 v[12:13], v[10:11], s[40:41]
	v_add_f64 v[40:41], v[16:17], v[142:143]
	;; [unrolled: 5-line block ×3, first 2 shown]
	v_add_f64 v[89:90], v[80:81], -v[100:101]
	v_fma_f64 v[12:13], v[154:155], s[24:25], -v[14:15]
	v_fma_f64 v[16:17], v[154:155], s[24:25], v[14:15]
	v_add_f64 v[24:25], v[12:13], v[108:109]
	v_mul_f64 v[12:13], v[10:11], s[26:27]
	v_add_f64 v[28:29], v[16:17], v[110:111]
	v_mul_f64 v[10:11], v[10:11], s[14:15]
	v_add_f64 v[108:109], v[82:83], -v[102:103]
	v_fma_f64 v[14:15], v[152:153], s[20:21], -v[12:13]
	v_fma_f64 v[12:13], v[152:153], s[20:21], v[12:13]
	v_add_f64 v[20:21], v[14:15], v[130:131]
	v_mul_f64 v[14:15], v[8:9], s[26:27]
	v_add_f64 v[18:19], v[12:13], v[128:129]
	v_add_f64 v[128:129], v[4:5], v[56:57]
	v_add_f64 v[56:57], v[70:71], -v[118:119]
	v_fma_f64 v[16:17], v[154:155], s[20:21], v[14:15]
	v_fma_f64 v[12:13], v[154:155], s[20:21], -v[14:15]
	v_add_f64 v[22:23], v[16:17], v[134:135]
	v_add_f64 v[16:17], v[12:13], v[132:133]
	;; [unrolled: 1-line block ×3, first 2 shown]
	v_mul_f64 v[6:7], v[0:1], s[28:29]
	v_fma_f64 v[12:13], v[152:153], s[6:7], -v[10:11]
	v_fma_f64 v[10:11], v[152:153], s[6:7], v[10:11]
	v_fma_f64 v[4:5], v[32:33], s[24:25], -v[6:7]
	v_fma_f64 v[84:85], v[32:33], s[24:25], v[6:7]
	v_add_f64 v[14:15], v[12:13], v[136:137]
	v_mul_f64 v[12:13], v[8:9], s[14:15]
	v_add_f64 v[10:11], v[10:11], v[148:149]
	v_add_f64 v[130:131], v[4:5], v[54:55]
	v_mul_f64 v[4:5], v[2:3], s[26:27]
	v_add_f64 v[134:135], v[84:85], v[58:59]
	v_fma_f64 v[8:9], v[154:155], s[6:7], v[12:13]
	v_fma_f64 v[12:13], v[154:155], s[6:7], -v[12:13]
	v_mul_f64 v[58:59], v[56:57], s[30:31]
	v_add_f64 v[54:55], v[68:69], -v[116:117]
	v_fma_f64 v[6:7], v[34:35], s[20:21], -v[4:5]
	v_fma_f64 v[4:5], v[34:35], s[20:21], v[4:5]
	v_add_f64 v[8:9], v[8:9], v[138:139]
	v_add_f64 v[12:13], v[12:13], v[150:151]
	;; [unrolled: 1-line block ×3, first 2 shown]
	v_mul_f64 v[6:7], v[0:1], s[26:27]
	v_add_f64 v[140:141], v[4:5], v[48:49]
	v_fma_f64 v[4:5], v[32:33], s[20:21], -v[6:7]
	v_fma_f64 v[52:53], v[32:33], s[20:21], v[6:7]
	v_add_f64 v[142:143], v[4:5], v[46:47]
	v_mul_f64 v[4:5], v[2:3], s[22:23]
	v_add_f64 v[138:139], v[52:53], v[50:51]
	v_fma_f64 v[6:7], v[34:35], s[18:19], -v[4:5]
	v_fma_f64 v[4:5], v[34:35], s[18:19], v[4:5]
	v_add_f64 v[144:145], v[6:7], v[42:43]
	;; [unrolled: 5-line block ×5, first 2 shown]
	v_mul_f64 v[4:5], v[2:3], s[14:15]
	v_mul_f64 v[2:3], v[2:3], s[12:13]
	v_add_f64 v[154:155], v[30:31], v[28:29]
	v_fma_f64 v[6:7], v[34:35], s[6:7], -v[4:5]
	v_fma_f64 v[4:5], v[34:35], s[6:7], v[4:5]
	v_add_f64 v[160:161], v[6:7], v[20:21]
	v_mul_f64 v[6:7], v[0:1], s[14:15]
	v_add_f64 v[164:165], v[4:5], v[18:19]
	v_mul_f64 v[0:1], v[0:1], s[12:13]
	v_fma_f64 v[4:5], v[32:33], s[6:7], -v[6:7]
	v_fma_f64 v[20:21], v[32:33], s[6:7], v[6:7]
	v_add_f64 v[6:7], v[66:67], -v[122:123]
	v_add_f64 v[166:167], v[4:5], v[16:17]
	v_fma_f64 v[4:5], v[34:35], s[0:1], -v[2:3]
	v_fma_f64 v[2:3], v[34:35], s[0:1], v[2:3]
	v_add_f64 v[162:163], v[20:21], v[22:23]
	v_mul_f64 v[16:17], v[6:7], s[30:31]
	v_mul_f64 v[24:25], v[6:7], s[36:37]
	v_mul_f64 v[40:41], v[6:7], s[22:23]
	v_add_f64 v[168:169], v[4:5], v[14:15]
	v_fma_f64 v[4:5], v[32:33], s[0:1], v[0:1]
	v_fma_f64 v[0:1], v[32:33], s[0:1], -v[0:1]
	v_add_f64 v[172:173], v[2:3], v[10:11]
	v_add_f64 v[2:3], v[66:67], v[122:123]
	v_mul_f64 v[32:33], v[6:7], s[14:15]
	v_add_f64 v[170:171], v[4:5], v[8:9]
	v_add_f64 v[4:5], v[64:65], -v[120:121]
	v_add_f64 v[174:175], v[0:1], v[12:13]
	v_add_f64 v[0:1], v[64:65], v[120:121]
	v_mul_f64 v[8:9], v[6:7], s[42:43]
	v_mul_f64 v[6:7], v[6:7], s[28:29]
	;; [unrolled: 1-line block ×8, first 2 shown]
	v_fma_f64 v[10:11], v[0:1], s[20:21], -v[8:9]
	v_fma_f64 v[8:9], v[0:1], s[20:21], v[8:9]
	v_fma_f64 v[18:19], v[0:1], s[16:17], -v[16:17]
	v_fma_f64 v[16:17], v[0:1], s[16:17], v[16:17]
	;; [unrolled: 2-line block ×6, first 2 shown]
	v_add_f64 v[6:7], v[70:71], v[118:119]
	v_fma_f64 v[14:15], v[2:3], s[20:21], v[12:13]
	v_fma_f64 v[12:13], v[2:3], s[20:21], -v[12:13]
	v_fma_f64 v[22:23], v[2:3], s[16:17], v[20:21]
	v_fma_f64 v[20:21], v[2:3], s[16:17], -v[20:21]
	;; [unrolled: 2-line block ×6, first 2 shown]
	v_add_f64 v[4:5], v[68:69], v[116:117]
	v_add_f64 v[10:11], v[60:61], v[10:11]
	;; [unrolled: 1-line block ×22, first 2 shown]
	v_fma_f64 v[84:85], v[4:5], s[16:17], -v[58:59]
	v_fma_f64 v[58:59], v[4:5], s[16:17], v[58:59]
	v_add_f64 v[2:3], v[62:63], v[2:3]
	v_add_f64 v[38:39], v[62:63], v[38:39]
	;; [unrolled: 1-line block ×4, first 2 shown]
	v_mul_f64 v[84:85], v[54:55], s[30:31]
	v_add_f64 v[8:9], v[58:59], v[8:9]
	v_fma_f64 v[58:59], v[6:7], s[16:17], -v[84:85]
	v_fma_f64 v[87:88], v[6:7], s[16:17], v[84:85]
	v_add_f64 v[12:13], v[58:59], v[12:13]
	v_mul_f64 v[58:59], v[56:57], s[14:15]
	v_add_f64 v[14:15], v[87:88], v[14:15]
	v_fma_f64 v[84:85], v[4:5], s[6:7], -v[58:59]
	v_fma_f64 v[58:59], v[4:5], s[6:7], v[58:59]
	v_add_f64 v[18:19], v[84:85], v[18:19]
	;; [unrolled: 5-line block ×7, first 2 shown]
	v_mul_f64 v[58:59], v[56:57], s[12:13]
	v_mul_f64 v[56:57], v[56:57], s[26:27]
	v_add_f64 v[38:39], v[87:88], v[38:39]
	v_fma_f64 v[84:85], v[4:5], s[0:1], -v[58:59]
	v_fma_f64 v[58:59], v[4:5], s[0:1], v[58:59]
	v_add_f64 v[42:43], v[84:85], v[42:43]
	v_mul_f64 v[84:85], v[54:55], s[12:13]
	v_add_f64 v[40:41], v[58:59], v[40:41]
	v_mul_f64 v[54:55], v[54:55], s[26:27]
	v_fma_f64 v[58:59], v[6:7], s[0:1], -v[84:85]
	v_fma_f64 v[87:88], v[6:7], s[0:1], v[84:85]
	v_add_f64 v[46:47], v[58:59], v[46:47]
	v_fma_f64 v[58:59], v[4:5], s[20:21], -v[56:57]
	v_fma_f64 v[4:5], v[4:5], s[20:21], v[56:57]
	v_add_f64 v[56:57], v[74:75], -v[114:115]
	v_add_f64 v[48:49], v[87:88], v[48:49]
	v_add_f64 v[50:51], v[58:59], v[50:51]
	v_fma_f64 v[58:59], v[6:7], s[20:21], v[54:55]
	v_add_f64 v[0:1], v[4:5], v[0:1]
	v_fma_f64 v[4:5], v[6:7], s[20:21], -v[54:55]
	v_add_f64 v[54:55], v[72:73], -v[112:113]
	v_add_f64 v[6:7], v[74:75], v[114:115]
	v_add_f64 v[52:53], v[58:59], v[52:53]
	v_mul_f64 v[58:59], v[56:57], s[36:37]
	v_add_f64 v[2:3], v[4:5], v[2:3]
	v_add_f64 v[4:5], v[72:73], v[112:113]
	v_fma_f64 v[84:85], v[4:5], s[0:1], -v[58:59]
	v_fma_f64 v[58:59], v[4:5], s[0:1], v[58:59]
	v_add_f64 v[10:11], v[84:85], v[10:11]
	v_mul_f64 v[84:85], v[54:55], s[36:37]
	v_add_f64 v[8:9], v[58:59], v[8:9]
	v_fma_f64 v[58:59], v[6:7], s[0:1], -v[84:85]
	v_fma_f64 v[87:88], v[6:7], s[0:1], v[84:85]
	v_add_f64 v[12:13], v[58:59], v[12:13]
	v_mul_f64 v[58:59], v[56:57], s[28:29]
	;; [unrolled: 5-line block ×8, first 2 shown]
	v_mul_f64 v[56:57], v[56:57], s[22:23]
	v_add_f64 v[38:39], v[87:88], v[38:39]
	v_fma_f64 v[84:85], v[4:5], s[16:17], -v[58:59]
	v_fma_f64 v[58:59], v[4:5], s[16:17], v[58:59]
	v_add_f64 v[42:43], v[84:85], v[42:43]
	v_mul_f64 v[84:85], v[54:55], s[30:31]
	v_add_f64 v[40:41], v[58:59], v[40:41]
	v_mul_f64 v[54:55], v[54:55], s[22:23]
	v_fma_f64 v[58:59], v[6:7], s[16:17], -v[84:85]
	v_fma_f64 v[87:88], v[6:7], s[16:17], v[84:85]
	v_add_f64 v[46:47], v[58:59], v[46:47]
	v_fma_f64 v[58:59], v[4:5], s[18:19], -v[56:57]
	v_fma_f64 v[4:5], v[4:5], s[18:19], v[56:57]
	v_add_f64 v[56:57], v[78:79], -v[106:107]
	v_add_f64 v[48:49], v[87:88], v[48:49]
	v_add_f64 v[50:51], v[58:59], v[50:51]
	v_fma_f64 v[58:59], v[6:7], s[18:19], v[54:55]
	v_add_f64 v[0:1], v[4:5], v[0:1]
	v_fma_f64 v[4:5], v[6:7], s[18:19], -v[54:55]
	v_add_f64 v[54:55], v[76:77], -v[104:105]
	v_add_f64 v[6:7], v[78:79], v[106:107]
	v_add_f64 v[52:53], v[58:59], v[52:53]
	v_mul_f64 v[58:59], v[56:57], s[14:15]
	v_add_f64 v[2:3], v[4:5], v[2:3]
	v_add_f64 v[4:5], v[76:77], v[104:105]
	v_fma_f64 v[84:85], v[4:5], s[6:7], -v[58:59]
	v_fma_f64 v[58:59], v[4:5], s[6:7], v[58:59]
	v_add_f64 v[10:11], v[84:85], v[10:11]
	v_mul_f64 v[84:85], v[54:55], s[14:15]
	v_add_f64 v[8:9], v[58:59], v[8:9]
	v_fma_f64 v[58:59], v[6:7], s[6:7], -v[84:85]
	v_fma_f64 v[87:88], v[6:7], s[6:7], v[84:85]
	v_add_f64 v[12:13], v[58:59], v[12:13]
	v_mul_f64 v[58:59], v[56:57], s[38:39]
	;; [unrolled: 5-line block ×9, first 2 shown]
	v_fma_f64 v[87:88], v[6:7], s[24:25], v[42:43]
	v_add_f64 v[48:49], v[87:88], v[48:49]
	v_add_f64 v[87:88], v[36:37], v[40:41]
	v_fma_f64 v[36:37], v[6:7], s[24:25], -v[42:43]
	v_add_f64 v[46:47], v[36:37], v[46:47]
	v_mul_f64 v[36:37], v[56:57], s[34:35]
	v_add_f64 v[56:57], v[82:83], v[102:103]
	v_fma_f64 v[40:41], v[4:5], s[16:17], -v[36:37]
	v_fma_f64 v[4:5], v[4:5], s[16:17], v[36:37]
	v_add_f64 v[50:51], v[40:41], v[50:51]
	v_mul_f64 v[40:41], v[54:55], s[34:35]
	v_add_f64 v[0:1], v[4:5], v[0:1]
	v_add_f64 v[54:55], v[80:81], v[100:101]
	v_fma_f64 v[4:5], v[6:7], s[16:17], -v[40:41]
	v_fma_f64 v[42:43], v[6:7], s[16:17], v[40:41]
	v_add_f64 v[2:3], v[4:5], v[2:3]
	v_mul_f64 v[4:5], v[108:109], s[22:23]
	v_add_f64 v[52:53], v[42:43], v[52:53]
	v_fma_f64 v[6:7], v[54:55], s[18:19], -v[4:5]
	v_fma_f64 v[4:5], v[54:55], s[18:19], v[4:5]
	v_add_f64 v[110:111], v[6:7], v[10:11]
	v_mul_f64 v[6:7], v[89:90], s[22:23]
	;; [unrolled: 5-line block ×3, first 2 shown]
	v_add_f64 v[176:177], v[10:11], v[14:15]
	v_mul_f64 v[10:11], v[89:90], s[30:31]
	v_mul_f64 v[12:13], v[108:109], s[40:41]
	;; [unrolled: 1-line block ×3, first 2 shown]
	v_fma_f64 v[6:7], v[54:55], s[0:1], -v[4:5]
	v_fma_f64 v[4:5], v[54:55], s[0:1], v[4:5]
	v_add_f64 v[188:189], v[6:7], v[18:19]
	v_mul_f64 v[6:7], v[89:90], s[12:13]
	v_add_f64 v[192:193], v[4:5], v[16:17]
	v_mul_f64 v[16:17], v[108:109], s[26:27]
	v_mul_f64 v[18:19], v[89:90], s[26:27]
	v_fma_f64 v[8:9], v[56:57], s[0:1], v[6:7]
	v_fma_f64 v[4:5], v[56:57], s[0:1], -v[6:7]
	v_fma_f64 v[6:7], v[56:57], s[16:17], v[10:11]
	v_add_f64 v[190:191], v[8:9], v[22:23]
	v_mul_f64 v[8:9], v[108:109], s[30:31]
	v_add_f64 v[194:195], v[4:5], v[20:21]
	v_mul_f64 v[20:21], v[108:109], s[14:15]
	v_add_f64 v[6:7], v[6:7], v[30:31]
	v_fma_f64 v[4:5], v[54:55], s[16:17], -v[8:9]
	v_fma_f64 v[8:9], v[54:55], s[16:17], v[8:9]
	v_add_f64 v[4:5], v[4:5], v[26:27]
	v_add_f64 v[42:43], v[8:9], v[24:25]
	v_fma_f64 v[8:9], v[56:57], s[16:17], -v[10:11]
	v_fma_f64 v[10:11], v[56:57], s[24:25], v[14:15]
	v_mul_f64 v[24:25], v[89:90], s[14:15]
	v_add_f64 v[26:27], v[92:93], v[96:97]
	v_add_f64 v[40:41], v[8:9], v[28:29]
	v_fma_f64 v[8:9], v[54:55], s[24:25], -v[12:13]
	v_fma_f64 v[12:13], v[54:55], s[24:25], v[12:13]
	v_add_f64 v[10:11], v[10:11], v[38:39]
	v_add_f64 v[38:39], v[94:95], -v[98:99]
	v_add_f64 v[28:29], v[92:93], -v[96:97]
	v_add_f64 v[8:9], v[8:9], v[34:35]
	v_add_f64 v[36:37], v[12:13], v[32:33]
	v_fma_f64 v[12:13], v[56:57], s[24:25], -v[14:15]
	v_fma_f64 v[14:15], v[56:57], s[20:21], v[18:19]
	v_add_f64 v[34:35], v[12:13], v[58:59]
	v_fma_f64 v[12:13], v[54:55], s[20:21], -v[16:17]
	v_fma_f64 v[16:17], v[54:55], s[20:21], v[16:17]
	v_add_f64 v[14:15], v[14:15], v[48:49]
	v_mul_f64 v[48:49], v[28:29], s[26:27]
	v_add_f64 v[12:13], v[12:13], v[84:85]
	v_add_f64 v[32:33], v[16:17], v[87:88]
	v_fma_f64 v[16:17], v[56:57], s[20:21], -v[18:19]
	v_fma_f64 v[18:19], v[56:57], s[6:7], v[24:25]
	v_add_f64 v[30:31], v[16:17], v[46:47]
	v_fma_f64 v[16:17], v[54:55], s[6:7], -v[20:21]
	v_fma_f64 v[20:21], v[54:55], s[6:7], v[20:21]
	v_add_f64 v[18:19], v[18:19], v[52:53]
	v_add_f64 v[16:17], v[16:17], v[50:51]
	;; [unrolled: 1-line block ×3, first 2 shown]
	v_fma_f64 v[0:1], v[56:57], s[6:7], -v[24:25]
	v_add_f64 v[24:25], v[94:95], v[98:99]
	v_add_f64 v[20:21], v[0:1], v[2:3]
	v_mul_f64 v[0:1], v[38:39], s[28:29]
	v_fma_f64 v[2:3], v[26:27], s[24:25], -v[0:1]
	v_fma_f64 v[0:1], v[26:27], s[24:25], v[0:1]
	v_add_f64 v[184:185], v[2:3], v[110:111]
	v_mul_f64 v[2:3], v[28:29], s[28:29]
	v_add_f64 v[214:215], v[0:1], v[178:179]
	v_fma_f64 v[46:47], v[24:25], s[24:25], v[2:3]
	v_fma_f64 v[0:1], v[24:25], s[24:25], -v[2:3]
	v_fma_f64 v[2:3], v[24:25], s[20:21], v[48:49]
	v_add_f64 v[186:187], v[46:47], v[176:177]
	v_mul_f64 v[46:47], v[38:39], s[26:27]
	v_add_f64 v[216:217], v[0:1], v[180:181]
	v_add_f64 v[2:3], v[2:3], v[190:191]
	v_fma_f64 v[0:1], v[26:27], s[20:21], -v[46:47]
	v_fma_f64 v[46:47], v[26:27], s[20:21], v[46:47]
	v_add_f64 v[0:1], v[0:1], v[188:189]
	v_add_f64 v[218:219], v[46:47], v[192:193]
	v_fma_f64 v[46:47], v[24:25], s[20:21], -v[48:49]
	v_add_f64 v[220:221], v[46:47], v[194:195]
	v_mul_f64 v[46:47], v[38:39], s[22:23]
	v_fma_f64 v[48:49], v[26:27], s[18:19], -v[46:47]
	v_fma_f64 v[46:47], v[26:27], s[18:19], v[46:47]
	v_add_f64 v[4:5], v[48:49], v[4:5]
	v_mul_f64 v[48:49], v[28:29], s[22:23]
	v_add_f64 v[222:223], v[46:47], v[42:43]
	v_fma_f64 v[42:43], v[24:25], s[18:19], -v[48:49]
	v_fma_f64 v[50:51], v[24:25], s[18:19], v[48:49]
	v_add_f64 v[224:225], v[42:43], v[40:41]
	v_mul_f64 v[40:41], v[38:39], s[34:35]
	v_add_f64 v[6:7], v[50:51], v[6:7]
	;; [unrolled: 5-line block ×5, first 2 shown]
	v_mul_f64 v[28:29], v[28:29], s[12:13]
	v_fma_f64 v[32:33], v[24:25], s[6:7], -v[36:37]
	v_fma_f64 v[40:41], v[24:25], s[6:7], v[36:37]
	v_add_f64 v[232:233], v[32:33], v[30:31]
	v_mul_f64 v[30:31], v[38:39], s[12:13]
	v_add_f64 v[14:15], v[40:41], v[14:15]
	v_fma_f64 v[32:33], v[26:27], s[0:1], -v[30:31]
	v_fma_f64 v[26:27], v[26:27], s[0:1], v[30:31]
	v_add_f64 v[16:17], v[32:33], v[16:17]
	v_fma_f64 v[32:33], v[24:25], s[0:1], v[28:29]
	v_add_f64 v[188:189], v[26:27], v[22:23]
	v_fma_f64 v[22:23], v[24:25], s[0:1], -v[28:29]
	v_add_f64 v[18:19], v[32:33], v[18:19]
	v_add_f64 v[190:191], v[22:23], v[20:21]
	v_mul_lo_u16 v20, v183, 13
	v_and_b32_e32 v20, 0xffff, v20
	v_lshl_add_u32 v84, v20, 4, v196
	v_mul_u32_u24_e32 v20, 13, v86
	ds_write_b128 v84, v[124:127]
	ds_write_b128 v84, v[132:135] offset:16
	ds_write_b128 v84, v[136:139] offset:32
	ds_write_b128 v84, v[144:147] offset:48
	ds_write_b128 v84, v[152:155] offset:64
	ds_write_b128 v84, v[160:163] offset:80
	ds_write_b128 v84, v[168:171] offset:96
	ds_write_b128 v84, v[172:175] offset:112
	ds_write_b128 v84, v[164:167] offset:128
	ds_write_b128 v84, v[156:159] offset:144
	ds_write_b128 v84, v[148:151] offset:160
	ds_write_b128 v84, v[140:143] offset:176
	ds_write_b128 v84, v[128:131] offset:192
	buffer_store_dword v20, off, s[48:51], 0 offset:888 ; 4-byte Folded Spill
	s_and_saveexec_b32 s0, vcc_lo
	s_cbranch_execz .LBB0_7
; %bb.6:
	v_add_f64 v[20:21], v[62:63], v[66:67]
	v_add_f64 v[22:23], v[60:61], v[64:65]
	;; [unrolled: 1-line block ×24, first 2 shown]
	v_mul_u32_u24_e32 v24, 13, v86
	v_lshl_add_u32 v24, v24, 4, v196
	ds_write_b128 v24, v[184:187] offset:16
	ds_write_b128 v24, v[0:3] offset:32
	;; [unrolled: 1-line block ×11, first 2 shown]
	ds_write_b128 v24, v[20:23]
	ds_write_b128 v24, v[214:217] offset:192
.LBB0_7:
	s_or_b32 exec_lo, exec_lo, s0
	s_waitcnt lgkmcnt(0)
	s_waitcnt_vscnt null, 0x0
	s_barrier
	buffer_gl0_inv
	ds_read_b128 v[96:99], v182
	ds_read_b128 v[92:95], v182 offset:1456
	ds_read_b128 v[112:115], v182 offset:3120
	;; [unrolled: 1-line block ×13, first 2 shown]
	v_cmp_gt_u16_e64 s0, 13, v183
	s_and_saveexec_b32 s1, s0
	s_cbranch_execz .LBB0_9
; %bb.8:
	ds_read_b128 v[184:187], v182 offset:2912
	ds_read_b128 v[0:3], v182 offset:6032
	;; [unrolled: 1-line block ×7, first 2 shown]
.LBB0_9:
	s_or_b32 exec_lo, exec_lo, s1
	v_and_b32_e32 v32, 0xff, v183
	v_mov_b32_e32 v34, 6
	s_mov_b32 s6, 0xaaaaaaaa
	s_mov_b32 s7, 0xbff2aaaa
	;; [unrolled: 1-line block ×3, first 2 shown]
	v_mul_lo_u16 v32, 0x4f, v32
	s_mov_b32 s21, 0xbfe11646
	s_mov_b32 s16, 0x429ad128
	;; [unrolled: 1-line block ×4, first 2 shown]
	v_lshrrev_b16 v32, 10, v32
	s_mov_b32 s25, 0x3fe948f6
	s_mov_b32 s18, 0x5476071b
	;; [unrolled: 1-line block ×4, first 2 shown]
	v_mul_lo_u16 v33, v32, 13
	s_mov_b32 s27, 0xbfe77f67
	s_mov_b32 s23, 0x3fd5d0dc
	s_mov_b32 s29, 0xbfd5d0dc
	s_mov_b32 s28, s22
	v_sub_nc_u16 v33, v183, v33
	s_mov_b32 s26, s18
	s_mov_b32 s12, 0x36b3c0b5
	;; [unrolled: 1-line block ×4, first 2 shown]
	v_mul_u32_u24_sdwa v35, v33, v34 dst_sel:DWORD dst_unused:UNUSED_PAD src0_sel:BYTE_0 src1_sel:DWORD
	s_mov_b32 s15, 0x3fdc38aa
	v_lshlrev_b32_e32 v35, 4, v35
	s_clause 0x5
	global_load_dwordx4 v[48:51], v35, s[4:5]
	global_load_dwordx4 v[52:55], v35, s[4:5] offset:16
	global_load_dwordx4 v[56:59], v35, s[4:5] offset:32
	;; [unrolled: 1-line block ×5, first 2 shown]
	v_and_b32_e32 v35, 0xff, v86
	v_mul_lo_u16 v35, 0x4f, v35
	v_lshrrev_b16 v35, 10, v35
	s_waitcnt vmcnt(5) lgkmcnt(11)
	v_mul_f64 v[36:37], v[114:115], v[50:51]
	v_mul_f64 v[38:39], v[112:113], v[50:51]
	s_waitcnt vmcnt(4) lgkmcnt(9)
	v_mul_f64 v[40:41], v[106:107], v[54:55]
	v_mul_f64 v[42:43], v[104:105], v[54:55]
	v_fma_f64 v[46:47], v[112:113], v[48:49], -v[36:37]
	buffer_store_dword v48, off, s[48:51], 0 offset:424 ; 4-byte Folded Spill
	buffer_store_dword v49, off, s[48:51], 0 offset:428 ; 4-byte Folded Spill
	;; [unrolled: 1-line block ×4, first 2 shown]
	s_waitcnt vmcnt(3) lgkmcnt(7)
	v_mul_f64 v[50:51], v[100:101], v[58:59]
	v_mul_lo_u16 v36, v35, 13
	v_sub_nc_u16 v36, v86, v36
	v_mul_u32_u24_sdwa v34, v36, v34 dst_sel:DWORD dst_unused:UNUSED_PAD src0_sel:BYTE_0 src1_sel:DWORD
	v_lshlrev_b32_e32 v34, 4, v34
	v_fma_f64 v[37:38], v[114:115], v[48:49], v[38:39]
	v_fma_f64 v[39:40], v[104:105], v[52:53], -v[40:41]
	buffer_store_dword v52, off, s[48:51], 0 offset:408 ; 4-byte Folded Spill
	buffer_store_dword v53, off, s[48:51], 0 offset:412 ; 4-byte Folded Spill
	;; [unrolled: 1-line block ×4, first 2 shown]
	v_mul_f64 v[48:49], v[102:103], v[58:59]
	s_waitcnt vmcnt(2) lgkmcnt(5)
	v_mul_f64 v[54:55], v[80:81], v[110:111]
	v_fma_f64 v[48:49], v[100:101], v[56:57], -v[48:49]
	buffer_store_dword v56, off, s[48:51], 0 offset:392 ; 4-byte Folded Spill
	buffer_store_dword v57, off, s[48:51], 0 offset:396 ; 4-byte Folded Spill
	;; [unrolled: 1-line block ×4, first 2 shown]
	s_waitcnt vmcnt(1) lgkmcnt(3)
	v_mul_f64 v[58:59], v[76:77], v[89:90]
	v_fma_f64 v[41:42], v[106:107], v[52:53], v[42:43]
	v_mul_f64 v[52:53], v[82:83], v[110:111]
	v_mov_b32_e32 v43, 0x5b
	v_fma_f64 v[80:81], v[80:81], v[108:109], -v[52:53]
	buffer_store_dword v108, off, s[48:51], 0 offset:376 ; 4-byte Folded Spill
	buffer_store_dword v109, off, s[48:51], 0 offset:380 ; 4-byte Folded Spill
	;; [unrolled: 1-line block ×4, first 2 shown]
	v_fma_f64 v[50:51], v[102:103], v[56:57], v[50:51]
	v_mul_f64 v[56:57], v[78:79], v[89:90]
	global_load_dwordx4 v[100:103], v34, s[4:5]
	v_add_co_u32 v52, null, 0xb6, v183
	v_fma_f64 v[53:54], v[82:83], v[108:109], v[54:55]
	v_fma_f64 v[55:56], v[76:77], v[87:88], -v[56:57]
	buffer_store_dword v87, off, s[48:51], 0 offset:360 ; 4-byte Folded Spill
	buffer_store_dword v88, off, s[48:51], 0 offset:364 ; 4-byte Folded Spill
	;; [unrolled: 1-line block ×4, first 2 shown]
	s_waitcnt vmcnt(1) lgkmcnt(1)
	v_mul_f64 v[76:77], v[30:31], v[118:119]
	v_fma_f64 v[57:58], v[78:79], v[87:88], v[58:59]
	v_mul_f64 v[78:79], v[28:29], v[118:119]
	v_fma_f64 v[28:29], v[28:29], v[116:117], -v[76:77]
	s_waitcnt vmcnt(0)
	v_mul_f64 v[76:77], v[74:75], v[102:103]
	buffer_store_dword v116, off, s[48:51], 0 offset:572 ; 4-byte Folded Spill
	buffer_store_dword v117, off, s[48:51], 0 offset:576 ; 4-byte Folded Spill
	;; [unrolled: 1-line block ×4, first 2 shown]
	global_load_dwordx4 v[87:90], v34, s[4:5] offset:16
	v_fma_f64 v[76:77], v[72:73], v[100:101], -v[76:77]
	v_mul_f64 v[72:73], v[72:73], v[102:103]
	buffer_store_dword v100, off, s[48:51], 0 offset:556 ; 4-byte Folded Spill
	buffer_store_dword v101, off, s[48:51], 0 offset:560 ; 4-byte Folded Spill
	;; [unrolled: 1-line block ×4, first 2 shown]
	v_fma_f64 v[30:31], v[30:31], v[116:117], v[78:79]
	v_fma_f64 v[72:73], v[74:75], v[100:101], v[72:73]
	s_waitcnt vmcnt(0)
	v_mul_f64 v[74:75], v[70:71], v[89:90]
	v_fma_f64 v[74:75], v[68:69], v[87:88], -v[74:75]
	v_mul_f64 v[68:69], v[68:69], v[89:90]
	buffer_store_dword v87, off, s[48:51], 0 offset:508 ; 4-byte Folded Spill
	buffer_store_dword v88, off, s[48:51], 0 offset:512 ; 4-byte Folded Spill
	;; [unrolled: 1-line block ×4, first 2 shown]
	v_fma_f64 v[68:69], v[70:71], v[87:88], v[68:69]
	s_clause 0x1
	global_load_dwordx4 v[100:103], v34, s[4:5] offset:32
	global_load_dwordx4 v[87:90], v34, s[4:5] offset:48
	s_waitcnt vmcnt(1)
	v_mul_f64 v[70:71], v[66:67], v[102:103]
	v_fma_f64 v[70:71], v[64:65], v[100:101], -v[70:71]
	v_mul_f64 v[64:65], v[64:65], v[102:103]
	buffer_store_dword v100, off, s[48:51], 0 offset:492 ; 4-byte Folded Spill
	buffer_store_dword v101, off, s[48:51], 0 offset:496 ; 4-byte Folded Spill
	;; [unrolled: 1-line block ×4, first 2 shown]
	v_fma_f64 v[64:65], v[66:67], v[100:101], v[64:65]
	s_waitcnt vmcnt(0)
	v_mul_f64 v[66:67], v[62:63], v[89:90]
	v_fma_f64 v[66:67], v[60:61], v[87:88], -v[66:67]
	v_mul_f64 v[59:60], v[60:61], v[89:90]
	buffer_store_dword v87, off, s[48:51], 0 offset:476 ; 4-byte Folded Spill
	buffer_store_dword v88, off, s[48:51], 0 offset:480 ; 4-byte Folded Spill
	;; [unrolled: 1-line block ×4, first 2 shown]
	v_add_f64 v[124:125], v[70:71], v[66:67]
	v_fma_f64 v[59:60], v[62:63], v[87:88], v[59:60]
	s_clause 0x1
	global_load_dwordx4 v[100:103], v34, s[4:5] offset:64
	global_load_dwordx4 v[87:90], v34, s[4:5] offset:80
	v_add_f64 v[132:133], v[64:65], v[59:60]
	s_waitcnt vmcnt(1)
	v_mul_f64 v[61:62], v[26:27], v[102:103]
	v_fma_f64 v[61:62], v[24:25], v[100:101], -v[61:62]
	v_mul_f64 v[24:25], v[24:25], v[102:103]
	buffer_store_dword v100, off, s[48:51], 0 offset:460 ; 4-byte Folded Spill
	buffer_store_dword v101, off, s[48:51], 0 offset:464 ; 4-byte Folded Spill
	;; [unrolled: 1-line block ×4, first 2 shown]
	v_fma_f64 v[78:79], v[26:27], v[100:101], v[24:25]
	s_waitcnt vmcnt(0) lgkmcnt(0)
	v_mul_f64 v[24:25], v[22:23], v[89:90]
	v_add_f64 v[130:131], v[68:69], v[78:79]
	v_fma_f64 v[82:83], v[20:21], v[87:88], -v[24:25]
	v_mul_f64 v[20:21], v[20:21], v[89:90]
	buffer_store_dword v87, off, s[48:51], 0 offset:444 ; 4-byte Folded Spill
	buffer_store_dword v88, off, s[48:51], 0 offset:448 ; 4-byte Folded Spill
	;; [unrolled: 1-line block ×4, first 2 shown]
	v_fma_f64 v[87:88], v[22:23], v[87:88], v[20:21]
	v_mov_b32_e32 v20, 0x4ec5
	v_mov_b32_e32 v21, 4
	v_mul_u32_u24_sdwa v20, v52, v20 dst_sel:DWORD dst_unused:UNUSED_PAD src0_sel:WORD_0 src1_sel:DWORD
	v_lshrrev_b32_e32 v20, 18, v20
	v_mul_lo_u16 v20, v20, 13
	v_sub_nc_u16 v20, v52, v20
	v_add_f64 v[128:129], v[72:73], v[87:88]
	v_mul_lo_u16 v22, v20, 6
	v_lshlrev_b32_sdwa v23, v21, v22 dst_sel:DWORD dst_unused:UNUSED_PAD src0_sel:DWORD src1_sel:WORD_0
	s_clause 0x1
	global_load_dwordx4 v[24:27], v23, s[4:5]
	global_load_dwordx4 v[104:107], v23, s[4:5] offset:16
	s_waitcnt vmcnt(1)
	v_mul_f64 v[21:22], v[2:3], v[26:27]
	v_fma_f64 v[89:90], v[0:1], v[24:25], -v[21:22]
	v_mul_f64 v[0:1], v[0:1], v[26:27]
	buffer_store_dword v24, off, s[48:51], 0 offset:792 ; 4-byte Folded Spill
	buffer_store_dword v25, off, s[48:51], 0 offset:796 ; 4-byte Folded Spill
	;; [unrolled: 1-line block ×4, first 2 shown]
	v_add_f64 v[21:22], v[37:38], v[30:31]
	v_fma_f64 v[100:101], v[2:3], v[24:25], v[0:1]
	s_waitcnt vmcnt(0)
	v_mul_f64 v[0:1], v[6:7], v[106:107]
	v_fma_f64 v[102:103], v[4:5], v[104:105], -v[0:1]
	v_mul_f64 v[0:1], v[4:5], v[106:107]
	buffer_store_dword v104, off, s[48:51], 0 offset:808 ; 4-byte Folded Spill
	buffer_store_dword v105, off, s[48:51], 0 offset:812 ; 4-byte Folded Spill
	buffer_store_dword v106, off, s[48:51], 0 offset:816 ; 4-byte Folded Spill
	buffer_store_dword v107, off, s[48:51], 0 offset:820 ; 4-byte Folded Spill
	s_clause 0x1
	global_load_dwordx4 v[2:5], v23, s[4:5] offset:32
	global_load_dwordx4 v[24:27], v23, s[4:5] offset:48
	v_fma_f64 v[104:105], v[6:7], v[104:105], v[0:1]
	s_waitcnt vmcnt(1)
	v_mul_f64 v[0:1], v[10:11], v[4:5]
	v_fma_f64 v[106:107], v[8:9], v[2:3], -v[0:1]
	v_mul_f64 v[0:1], v[8:9], v[4:5]
	buffer_store_dword v2, off, s[48:51], 0 offset:824 ; 4-byte Folded Spill
	buffer_store_dword v3, off, s[48:51], 0 offset:828 ; 4-byte Folded Spill
	;; [unrolled: 1-line block ×4, first 2 shown]
	v_fma_f64 v[108:109], v[10:11], v[2:3], v[0:1]
	s_waitcnt vmcnt(0)
	v_mul_f64 v[0:1], v[14:15], v[26:27]
	v_fma_f64 v[110:111], v[12:13], v[24:25], -v[0:1]
	v_mul_f64 v[0:1], v[12:13], v[26:27]
	buffer_store_dword v24, off, s[48:51], 0 offset:840 ; 4-byte Folded Spill
	buffer_store_dword v25, off, s[48:51], 0 offset:844 ; 4-byte Folded Spill
	;; [unrolled: 1-line block ×4, first 2 shown]
	s_clause 0x1
	global_load_dwordx4 v[2:5], v23, s[4:5] offset:64
	global_load_dwordx4 v[6:9], v23, s[4:5] offset:80
	v_add_f64 v[12:13], v[39:40], v[55:56]
	v_mul_u32_u24_sdwa v27, v32, v43 dst_sel:DWORD dst_unused:UNUSED_PAD src0_sel:WORD_0 src1_sel:DWORD
	v_add_nc_u32_sdwa v27, v27, v33 dst_sel:DWORD dst_unused:UNUSED_PAD src0_sel:DWORD src1_sel:BYTE_0
	v_lshl_add_u32 v85, v27, 4, v196
	v_add_f64 v[136:137], v[106:107], v[110:111]
	v_fma_f64 v[112:113], v[14:15], v[24:25], v[0:1]
	v_add_f64 v[23:24], v[41:42], v[57:58]
	v_add_f64 v[25:26], v[50:51], v[53:54]
	s_waitcnt vmcnt(1)
	v_mul_f64 v[0:1], v[18:19], v[4:5]
	v_add_f64 v[144:145], v[108:109], v[112:113]
	v_fma_f64 v[114:115], v[16:17], v[2:3], -v[0:1]
	v_mul_f64 v[0:1], v[16:17], v[4:5]
	buffer_store_dword v2, off, s[48:51], 0 offset:856 ; 4-byte Folded Spill
	buffer_store_dword v3, off, s[48:51], 0 offset:860 ; 4-byte Folded Spill
	;; [unrolled: 1-line block ×4, first 2 shown]
	v_add_f64 v[16:17], v[46:47], v[28:29]
	v_add_f64 v[27:28], v[46:47], -v[28:29]
	v_add_f64 v[29:30], v[37:38], -v[30:31]
	;; [unrolled: 1-line block ×3, first 2 shown]
	v_fma_f64 v[116:117], v[18:19], v[2:3], v[0:1]
	s_waitcnt vmcnt(0)
	v_mul_f64 v[0:1], v[190:191], v[8:9]
	v_add_f64 v[18:19], v[48:49], v[80:81]
	v_add_f64 v[142:143], v[104:105], v[116:117]
	v_fma_f64 v[118:119], v[188:189], v[6:7], -v[0:1]
	v_mul_f64 v[0:1], v[188:189], v[8:9]
	buffer_store_dword v6, off, s[48:51], 0 offset:872 ; 4-byte Folded Spill
	buffer_store_dword v7, off, s[48:51], 0 offset:876 ; 4-byte Folded Spill
	;; [unrolled: 1-line block ×4, first 2 shown]
	s_waitcnt_vscnt null, 0x0
	s_barrier
	buffer_gl0_inv
	v_add_f64 v[46:47], v[18:19], -v[12:13]
	v_fma_f64 v[120:121], v[190:191], v[6:7], v[0:1]
	v_add_f64 v[0:1], v[12:13], v[16:17]
	v_add_f64 v[16:17], v[16:17], -v[18:19]
	v_add_f64 v[140:141], v[100:101], v[120:121]
	v_add_f64 v[14:15], v[18:19], v[0:1]
	;; [unrolled: 1-line block ×3, first 2 shown]
	v_add_f64 v[18:19], v[21:22], -v[25:26]
	v_add_f64 v[4:5], v[96:97], v[14:15]
	v_add_f64 v[122:123], v[25:26], v[0:1]
	;; [unrolled: 1-line block ×3, first 2 shown]
	v_fma_f64 v[32:33], v[14:15], s[6:7], v[4:5]
	v_add_f64 v[6:7], v[98:99], v[122:123]
	v_add_f64 v[98:99], v[74:75], v[61:62]
	ds_write_b128 v85, v[4:7]
	v_add_f64 v[4:5], v[39:40], -v[55:56]
	v_add_f64 v[39:40], v[80:81], -v[48:49]
	v_fma_f64 v[122:123], v[122:123], s[6:7], v[6:7]
	v_add_f64 v[6:7], v[41:42], -v[57:58]
	v_add_f64 v[41:42], v[53:54], -v[50:51]
	;; [unrolled: 1-line block ×4, first 2 shown]
	v_add_f64 v[0:1], v[98:99], v[96:97]
	v_add_f64 v[23:24], v[4:5], -v[27:28]
	v_add_f64 v[14:15], v[39:40], -v[4:5]
	v_add_f64 v[12:13], v[39:40], v[4:5]
	v_add_f64 v[55:56], v[6:7], -v[29:30]
	v_add_f64 v[4:5], v[41:42], v[6:7]
	v_add_f64 v[53:54], v[41:42], -v[6:7]
	v_add_f64 v[25:26], v[27:28], -v[39:40]
	v_mul_f64 v[39:40], v[18:19], s[24:25]
	v_add_f64 v[126:127], v[124:125], v[0:1]
	v_add_f64 v[0:1], v[130:131], v[128:129]
	v_mul_f64 v[6:7], v[50:51], s[12:13]
	v_mul_f64 v[21:22], v[23:24], s[16:17]
	;; [unrolled: 1-line block ×3, first 2 shown]
	v_add_f64 v[57:58], v[12:13], v[27:28]
	v_add_f64 v[27:28], v[29:30], -v[41:42]
	v_add_f64 v[80:81], v[4:5], v[29:30]
	v_mul_f64 v[29:30], v[16:17], s[24:25]
	v_mul_f64 v[53:54], v[53:54], s[20:21]
	;; [unrolled: 1-line block ×3, first 2 shown]
	v_add_f64 v[8:9], v[92:93], v[126:127]
	v_add_f64 v[134:135], v[132:133], v[0:1]
	v_fma_f64 v[6:7], v[48:49], s[18:19], -v[6:7]
	v_add_f64 v[91:92], v[89:90], v[118:119]
	v_fma_f64 v[16:17], v[25:26], s[28:29], -v[21:22]
	v_fma_f64 v[12:13], v[23:24], s[16:17], -v[148:149]
	v_mul_f64 v[23:24], v[55:56], s[16:17]
	v_fma_f64 v[25:26], v[25:26], s[22:23], v[148:149]
	v_fma_f64 v[21:22], v[37:38], s[26:27], -v[29:30]
	v_fma_f64 v[29:30], v[46:47], s[12:13], v[29:30]
	v_fma_f64 v[4:5], v[37:38], s[18:19], -v[4:5]
	v_add_f64 v[10:11], v[94:95], v[134:135]
	v_add_f64 v[93:94], v[102:103], v[114:115]
	;; [unrolled: 1-line block ×3, first 2 shown]
	v_fma_f64 v[37:38], v[57:58], s[14:15], v[16:17]
	v_fma_f64 v[14:15], v[57:58], s[14:15], v[12:13]
	v_fma_f64 v[18:19], v[27:28], s[28:29], -v[23:24]
	v_fma_f64 v[23:24], v[48:49], s[26:27], -v[39:40]
	v_fma_f64 v[27:28], v[27:28], s[22:23], v[53:54]
	v_add_f64 v[21:22], v[21:22], v[32:33]
	v_add_f64 v[29:30], v[29:30], v[32:33]
	;; [unrolled: 1-line block ×3, first 2 shown]
	v_add_f64 v[33:34], v[74:75], -v[61:62]
	v_fma_f64 v[12:13], v[55:56], s[16:17], -v[53:54]
	v_add_f64 v[53:54], v[59:60], -v[64:65]
	v_add_f64 v[55:56], v[72:73], -v[87:88]
	;; [unrolled: 1-line block ×5, first 2 shown]
	v_add_f64 v[0:1], v[93:94], v[91:92]
	v_add_f64 v[6:7], v[14:15], v[152:153]
	v_fma_f64 v[41:42], v[80:81], s[14:15], v[18:19]
	v_add_f64 v[23:24], v[23:24], v[122:123]
	v_add_f64 v[14:15], v[152:153], -v[14:15]
	v_fma_f64 v[12:13], v[80:81], s[14:15], v[12:13]
	v_add_f64 v[138:139], v[136:137], v[0:1]
	v_add_f64 v[0:1], v[142:143], v[140:141]
	;; [unrolled: 1-line block ×3, first 2 shown]
	v_add_f64 v[21:22], v[21:22], -v[41:42]
	v_fma_f64 v[41:42], v[80:81], s[14:15], v[27:28]
	v_add_f64 v[18:19], v[23:24], -v[37:38]
	v_add_f64 v[23:24], v[37:38], v[23:24]
	v_fma_f64 v[37:38], v[50:51], s[12:13], v[39:40]
	v_fma_f64 v[39:40], v[57:58], s[14:15], v[25:26]
	v_add_f64 v[50:51], v[76:77], -v[82:83]
	v_add_f64 v[57:58], v[98:99], -v[96:97]
	v_fma_f64 v[75:76], v[126:127], s[6:7], v[8:9]
	v_add_f64 v[4:5], v[150:151], -v[12:13]
	v_add_f64 v[12:13], v[12:13], v[150:151]
	v_add_f64 v[146:147], v[144:145], v[0:1]
	;; [unrolled: 1-line block ×4, first 2 shown]
	v_add_f64 v[29:30], v[29:30], -v[41:42]
	v_add_f64 v[41:42], v[66:67], -v[70:71]
	v_add_f64 v[31:32], v[37:38], v[122:123]
	v_add_f64 v[37:38], v[68:69], -v[78:79]
	v_fma_f64 v[77:78], v[134:135], s[6:7], v[10:11]
	v_add_f64 v[2:3], v[186:187], v[146:147]
	v_add_f64 v[46:47], v[41:42], -v[33:34]
	v_add_f64 v[27:28], v[31:32], -v[39:40]
	v_add_f64 v[31:32], v[39:40], v[31:32]
	v_add_f64 v[39:40], v[41:42], v[33:34]
	v_add_f64 v[33:34], v[33:34], -v[50:51]
	v_add_f64 v[65:66], v[53:54], -v[37:38]
	v_add_f64 v[48:49], v[53:54], v[37:38]
	v_add_f64 v[67:68], v[37:38], -v[55:56]
	v_mul_f64 v[37:38], v[61:62], s[12:13]
	v_add_f64 v[41:42], v[50:51], -v[41:42]
	ds_write_b128 v85, v[25:28] offset:208
	ds_write_b128 v85, v[16:19] offset:416
	;; [unrolled: 1-line block ×5, first 2 shown]
	v_mul_f64 v[73:74], v[46:47], s[20:21]
	v_add_f64 v[69:70], v[39:40], v[50:51]
	v_mul_f64 v[39:40], v[63:64], s[12:13]
	v_mul_f64 v[65:66], v[65:66], s[20:21]
	v_add_f64 v[71:72], v[48:49], v[55:56]
	v_add_f64 v[50:51], v[55:56], -v[53:54]
	v_fma_f64 v[37:38], v[57:58], s[18:19], -v[37:38]
	v_mul_f64 v[53:54], v[67:68], s[16:17]
	v_mul_u32_u24_sdwa v4, v35, v43 dst_sel:DWORD dst_unused:UNUSED_PAD src0_sel:WORD_0 src1_sel:DWORD
	v_and_b32_e32 v5, 0xffff, v20
	buffer_store_dword v85, off, s[48:51], 0 offset:724 ; 4-byte Folded Spill
	ds_write_b128 v85, v[29:32] offset:1248
	v_add_nc_u32_sdwa v4, v4, v36 dst_sel:DWORD dst_unused:UNUSED_PAD src0_sel:DWORD src1_sel:BYTE_0
	v_lshl_add_u32 v4, v4, 4, v196
	v_fma_f64 v[46:47], v[33:34], s[16:17], -v[73:74]
	v_mul_f64 v[33:34], v[33:34], s[16:17]
	v_fma_f64 v[39:40], v[59:60], s[18:19], -v[39:40]
	v_add_f64 v[79:80], v[37:38], v[75:76]
	v_fma_f64 v[53:54], v[50:51], s[28:29], -v[53:54]
	v_fma_f64 v[48:49], v[69:70], s[14:15], v[46:47]
	v_fma_f64 v[46:47], v[67:68], s[16:17], -v[65:66]
	v_add_f64 v[81:82], v[39:40], v[77:78]
	v_fma_f64 v[33:34], v[41:42], s[28:29], -v[33:34]
	v_fma_f64 v[46:47], v[71:72], s[14:15], v[46:47]
	v_add_f64 v[39:40], v[48:49], v[81:82]
	v_add_f64 v[48:49], v[81:82], -v[48:49]
	v_add_f64 v[81:82], v[128:129], -v[132:133]
	v_fma_f64 v[33:34], v[69:70], s[14:15], v[33:34]
	v_add_f64 v[37:38], v[79:80], -v[46:47]
	v_add_f64 v[46:47], v[46:47], v[79:80]
	v_add_f64 v[79:80], v[96:97], -v[124:125]
	v_mul_f64 v[67:68], v[79:80], s[24:25]
	v_mul_f64 v[79:80], v[81:82], s[24:25]
	v_fma_f64 v[55:56], v[57:58], s[26:27], -v[67:68]
	v_fma_f64 v[57:58], v[59:60], s[26:27], -v[79:80]
	v_fma_f64 v[59:60], v[71:72], s[14:15], v[53:54]
	v_add_f64 v[81:82], v[55:56], v[75:76]
	v_add_f64 v[87:88], v[57:58], v[77:78]
	;; [unrolled: 1-line block ×3, first 2 shown]
	v_add_f64 v[55:56], v[87:88], -v[33:34]
	v_add_f64 v[57:58], v[81:82], -v[59:60]
	v_add_f64 v[59:60], v[33:34], v[87:88]
	v_fma_f64 v[33:34], v[41:42], s[22:23], v[73:74]
	v_fma_f64 v[41:42], v[50:51], s[22:23], v[65:66]
	;; [unrolled: 1-line block ×4, first 2 shown]
	v_add_f64 v[73:74], v[100:101], -v[120:121]
	v_add_f64 v[81:82], v[144:145], -v[142:143]
	;; [unrolled: 1-line block ×3, first 2 shown]
	v_fma_f64 v[33:34], v[69:70], s[14:15], v[33:34]
	v_fma_f64 v[41:42], v[71:72], s[14:15], v[41:42]
	v_add_f64 v[69:70], v[104:105], -v[116:117]
	v_add_f64 v[71:72], v[112:113], -v[108:109]
	v_add_f64 v[67:68], v[61:62], v[77:78]
	v_add_f64 v[77:78], v[136:137], -v[93:94]
	v_add_f64 v[50:51], v[50:51], v[75:76]
	v_add_f64 v[75:76], v[93:94], -v[91:92]
	v_add_f64 v[91:92], v[91:92], -v[136:137]
	v_mul_f64 v[99:100], v[81:82], s[12:13]
	v_add_f64 v[95:96], v[71:72], -v[69:70]
	v_add_f64 v[93:94], v[71:72], v[69:70]
	v_add_f64 v[69:70], v[69:70], -v[73:74]
	v_mul_f64 v[97:98], v[77:78], s[12:13]
	v_add_f64 v[61:62], v[41:42], v[50:51]
	v_add_f64 v[63:64], v[67:68], -v[33:34]
	v_add_f64 v[65:66], v[50:51], -v[41:42]
	v_add_f64 v[67:68], v[33:34], v[67:68]
	v_add_f64 v[33:34], v[102:103], -v[114:115]
	v_add_f64 v[41:42], v[110:111], -v[106:107]
	v_fma_f64 v[101:102], v[138:139], s[6:7], v[0:1]
	v_add_f64 v[50:51], v[89:90], -v[118:119]
	v_fma_f64 v[103:104], v[146:147], s[6:7], v[2:3]
	v_fma_f64 v[99:100], v[79:80], s[18:19], -v[99:100]
	ds_write_b128 v4, v[8:11]
	ds_write_b128 v4, v[61:64] offset:208
	ds_write_b128 v4, v[53:56] offset:416
	v_mul_f64 v[95:96], v[95:96], s[20:21]
	v_add_f64 v[93:94], v[93:94], v[73:74]
	v_fma_f64 v[97:98], v[75:76], s[18:19], -v[97:98]
	buffer_store_dword v5, off, s[48:51], 0 offset:440 ; 4-byte Folded Spill
	v_add_f64 v[89:90], v[41:42], -v[33:34]
	v_add_f64 v[87:88], v[41:42], v[33:34]
	v_add_f64 v[33:34], v[33:34], -v[50:51]
	v_add_f64 v[41:42], v[50:51], -v[41:42]
	v_add_f64 v[99:100], v[99:100], v[103:104]
	ds_write_b128 v4, v[37:40] offset:624
	ds_write_b128 v4, v[46:49] offset:832
	ds_write_b128 v4, v[57:60] offset:1040
	buffer_store_dword v4, off, s[48:51], 0 offset:720 ; 4-byte Folded Spill
	ds_write_b128 v4, v[65:68] offset:1248
	v_fma_f64 v[107:108], v[69:70], s[16:17], -v[95:96]
	v_mul_f64 v[69:70], v[69:70], s[16:17]
	v_add_f64 v[97:98], v[97:98], v[101:102]
	v_mul_f64 v[89:90], v[89:90], s[20:21]
	v_add_f64 v[87:88], v[87:88], v[50:51]
	v_add_f64 v[50:51], v[73:74], -v[71:72]
	v_mul_f64 v[71:72], v[91:92], s[24:25]
	v_fma_f64 v[107:108], v[93:94], s[14:15], v[107:108]
	v_fma_f64 v[105:106], v[33:34], s[16:17], -v[89:90]
	v_mul_f64 v[33:34], v[33:34], s[16:17]
	v_fma_f64 v[69:70], v[50:51], s[28:29], -v[69:70]
	v_fma_f64 v[75:76], v[75:76], s[26:27], -v[71:72]
	v_add_f64 v[150:151], v[97:98], -v[107:108]
	v_add_f64 v[146:147], v[107:108], v[97:98]
	v_add_f64 v[97:98], v[140:141], -v[144:145]
	v_fma_f64 v[105:106], v[87:88], s[14:15], v[105:106]
	v_fma_f64 v[33:34], v[41:42], s[28:29], -v[33:34]
	v_fma_f64 v[69:70], v[93:94], s[14:15], v[69:70]
	v_add_f64 v[75:76], v[75:76], v[101:102]
	v_mul_f64 v[73:74], v[97:98], s[24:25]
	v_add_f64 v[152:153], v[105:106], v[99:100]
	v_fma_f64 v[33:34], v[87:88], s[14:15], v[33:34]
	v_add_f64 v[148:149], v[99:100], -v[105:106]
	v_add_f64 v[142:143], v[69:70], v[75:76]
	v_add_f64 v[134:135], v[75:76], -v[69:70]
	v_fma_f64 v[79:80], v[79:80], s[26:27], -v[73:74]
	v_fma_f64 v[69:70], v[81:82], s[12:13], v[73:74]
	v_add_f64 v[79:80], v[79:80], v[103:104]
	v_add_f64 v[69:70], v[69:70], v[103:104]
	v_add_f64 v[144:145], v[79:80], -v[33:34]
	v_add_f64 v[136:137], v[33:34], v[79:80]
	v_fma_f64 v[33:34], v[41:42], s[22:23], v[89:90]
	v_fma_f64 v[41:42], v[50:51], s[22:23], v[95:96]
	;; [unrolled: 1-line block ×5, first 2 shown]
	v_add_f64 v[50:51], v[50:51], v[101:102]
	v_add_f64 v[156:157], v[69:70], -v[33:34]
	v_add_f64 v[140:141], v[33:34], v[69:70]
	v_add_f64 v[154:155], v[41:42], v[50:51]
	v_add_f64 v[138:139], v[50:51], -v[41:42]
	s_and_saveexec_b32 s1, s0
	s_cbranch_execz .LBB0_11
; %bb.10:
	buffer_load_dword v4, off, s[48:51], 0 offset:440 ; 4-byte Folded Reload
	s_waitcnt vmcnt(0)
	v_lshl_add_u32 v4, v4, 4, v196
	ds_write_b128 v4, v[0:3] offset:20384
	ds_write_b128 v4, v[154:157] offset:20592
	;; [unrolled: 1-line block ×7, first 2 shown]
.LBB0_11:
	s_or_b32 exec_lo, exec_lo, s1
	v_lshlrev_b32_e32 v12, 6, v183
	s_waitcnt lgkmcnt(0)
	s_waitcnt_vscnt null, 0x0
	s_barrier
	buffer_gl0_inv
	ds_read_b128 v[20:23], v182
	ds_read_b128 v[8:11], v182 offset:4368
	ds_read_b128 v[28:31], v182 offset:8736
	;; [unrolled: 1-line block ×14, first 2 shown]
	s_clause 0x3
	global_load_dwordx4 v[91:94], v12, s[4:5] offset:1296
	global_load_dwordx4 v[95:98], v12, s[4:5] offset:1280
	;; [unrolled: 1-line block ×4, first 2 shown]
	v_add_co_u32 v54, s1, s4, v12
	v_add_co_ci_u32_e64 v55, null, s5, 0, s1
	s_mov_b32 s16, 0x134454ff
	s_mov_b32 s17, 0x3fee6f0e
	;; [unrolled: 1-line block ×10, first 2 shown]
	v_lshlrev_b32_e32 v53, 5, v183
	s_waitcnt vmcnt(0) lgkmcnt(13)
	v_mul_f64 v[12:13], v[10:11], v[105:106]
	v_fma_f64 v[14:15], v[8:9], v[103:104], -v[12:13]
	v_mul_f64 v[8:9], v[8:9], v[105:106]
	v_fma_f64 v[26:27], v[10:11], v[103:104], v[8:9]
	s_waitcnt lgkmcnt(12)
	v_mul_f64 v[8:9], v[30:31], v[101:102]
	v_fma_f64 v[18:19], v[28:29], v[99:100], -v[8:9]
	v_mul_f64 v[8:9], v[28:29], v[101:102]
	v_add_f64 v[16:17], v[14:15], -v[18:19]
	v_fma_f64 v[28:29], v[30:31], v[99:100], v[8:9]
	s_waitcnt lgkmcnt(11)
	v_mul_f64 v[8:9], v[34:35], v[97:98]
	v_fma_f64 v[36:37], v[32:33], v[95:96], -v[8:9]
	v_mul_f64 v[8:9], v[32:33], v[97:98]
	v_fma_f64 v[30:31], v[34:35], v[95:96], v[8:9]
	s_waitcnt lgkmcnt(10)
	v_mul_f64 v[8:9], v[48:49], v[93:94]
	v_fma_f64 v[40:41], v[46:47], v[91:92], -v[8:9]
	v_mul_f64 v[8:9], v[46:47], v[93:94]
	v_fma_f64 v[32:33], v[48:49], v[91:92], v[8:9]
	s_waitcnt lgkmcnt(8)
	v_mul_f64 v[8:9], v[58:59], v[105:106]
	v_add_f64 v[24:25], v[26:27], -v[32:33]
	v_fma_f64 v[34:35], v[56:57], v[103:104], -v[8:9]
	v_mul_f64 v[8:9], v[56:57], v[105:106]
	buffer_store_dword v103, off, s[48:51], 0 offset:776 ; 4-byte Folded Spill
	buffer_store_dword v104, off, s[48:51], 0 offset:780 ; 4-byte Folded Spill
	buffer_store_dword v105, off, s[48:51], 0 offset:784 ; 4-byte Folded Spill
	buffer_store_dword v106, off, s[48:51], 0 offset:788 ; 4-byte Folded Spill
	v_fma_f64 v[42:43], v[58:59], v[103:104], v[8:9]
	s_waitcnt lgkmcnt(7)
	v_mul_f64 v[8:9], v[62:63], v[101:102]
	v_fma_f64 v[38:39], v[60:61], v[99:100], -v[8:9]
	v_mul_f64 v[8:9], v[60:61], v[101:102]
	buffer_store_dword v99, off, s[48:51], 0 offset:760 ; 4-byte Folded Spill
	buffer_store_dword v100, off, s[48:51], 0 offset:764 ; 4-byte Folded Spill
	buffer_store_dword v101, off, s[48:51], 0 offset:768 ; 4-byte Folded Spill
	buffer_store_dword v102, off, s[48:51], 0 offset:772 ; 4-byte Folded Spill
	v_fma_f64 v[168:169], v[62:63], v[99:100], v[8:9]
	s_waitcnt lgkmcnt(6)
	v_mul_f64 v[8:9], v[66:67], v[97:98]
	;; [unrolled: 9-line block ×3, first 2 shown]
	v_fma_f64 v[72:73], v[68:69], v[91:92], -v[8:9]
	v_mul_f64 v[8:9], v[68:69], v[93:94]
	buffer_store_dword v91, off, s[48:51], 0 offset:728 ; 4-byte Folded Spill
	buffer_store_dword v92, off, s[48:51], 0 offset:732 ; 4-byte Folded Spill
	;; [unrolled: 1-line block ×4, first 2 shown]
	v_fma_f64 v[64:65], v[70:71], v[91:92], v[8:9]
	v_mov_b32_e32 v8, 0x6817
	v_mul_u32_u24_sdwa v8, v52, v8 dst_sel:DWORD dst_unused:UNUSED_PAD src0_sel:WORD_0 src1_sel:DWORD
	v_lshrrev_b32_e32 v8, 16, v8
	v_sub_nc_u16 v9, v52, v8
	v_lshrrev_b16 v9, 1, v9
	v_add_nc_u16 v8, v9, v8
	v_lshrrev_b16 v8, 6, v8
	v_mul_lo_u16 v8, 0x5b, v8
	v_sub_nc_u16 v56, v52, v8
	v_lshlrev_b16 v8, 6, v56
	v_and_b32_e32 v8, 0xffff, v8
	v_add_co_u32 v8, s1, s4, v8
	v_add_co_ci_u32_e64 v9, null, s5, 0, s1
	s_clause 0x3
	global_load_dwordx4 v[10:13], v[8:9], off offset:1296
	global_load_dwordx4 v[57:60], v[8:9], off offset:1280
	;; [unrolled: 1-line block ×4, first 2 shown]
	v_sub_co_u32 v54, s1, v54, v53
	v_subrev_co_ci_u32_e64 v55, s1, 0, v55, s1
	s_waitcnt vmcnt(0) lgkmcnt(3)
	v_mul_f64 v[8:9], v[76:77], v[70:71]
	v_fma_f64 v[66:67], v[74:75], v[68:69], -v[8:9]
	v_mul_f64 v[8:9], v[74:75], v[70:71]
	buffer_store_dword v68, off, s[48:51], 0 offset:344 ; 4-byte Folded Spill
	buffer_store_dword v69, off, s[48:51], 0 offset:348 ; 4-byte Folded Spill
	;; [unrolled: 1-line block ×4, first 2 shown]
	v_add_f64 v[74:75], v[40:41], -v[36:37]
	v_add_f64 v[16:17], v[16:17], v[74:75]
	v_add_f64 v[74:75], v[18:19], -v[14:15]
	v_fma_f64 v[46:47], v[76:77], v[68:69], v[8:9]
	s_waitcnt lgkmcnt(2)
	v_mul_f64 v[8:9], v[80:81], v[50:51]
	v_add_f64 v[76:77], v[36:37], -v[40:41]
	v_fma_f64 v[68:69], v[78:79], v[48:49], -v[8:9]
	v_mul_f64 v[8:9], v[78:79], v[50:51]
	buffer_store_dword v48, off, s[48:51], 0 offset:328 ; 4-byte Folded Spill
	buffer_store_dword v49, off, s[48:51], 0 offset:332 ; 4-byte Folded Spill
	;; [unrolled: 1-line block ×4, first 2 shown]
	v_add_f64 v[74:75], v[74:75], v[76:77]
	v_add_f64 v[76:77], v[172:173], -v[72:73]
	v_fma_f64 v[48:49], v[80:81], v[48:49], v[8:9]
	s_waitcnt lgkmcnt(1)
	v_mul_f64 v[8:9], v[89:90], v[59:60]
	v_fma_f64 v[70:71], v[87:88], v[57:58], -v[8:9]
	v_mul_f64 v[8:9], v[87:88], v[59:60]
	buffer_store_dword v57, off, s[48:51], 0 offset:312 ; 4-byte Folded Spill
	buffer_store_dword v58, off, s[48:51], 0 offset:316 ; 4-byte Folded Spill
	;; [unrolled: 1-line block ×4, first 2 shown]
	v_fma_f64 v[50:51], v[89:90], v[57:58], v[8:9]
	s_waitcnt lgkmcnt(0)
	v_mul_f64 v[8:9], v[110:111], v[12:13]
	v_add_f64 v[57:58], v[28:29], -v[30:31]
	v_fma_f64 v[170:171], v[108:109], v[10:11], -v[8:9]
	v_mul_f64 v[8:9], v[108:109], v[12:13]
	buffer_store_dword v10, off, s[48:51], 0 offset:296 ; 4-byte Folded Spill
	buffer_store_dword v11, off, s[48:51], 0 offset:300 ; 4-byte Folded Spill
	;; [unrolled: 1-line block ×4, first 2 shown]
	s_waitcnt_vscnt null, 0x0
	s_barrier
	buffer_gl0_inv
	v_add_f64 v[78:79], v[170:171], -v[70:71]
	v_add_f64 v[80:81], v[70:71], -v[170:171]
	v_fma_f64 v[60:61], v[110:111], v[10:11], v[8:9]
	v_add_f64 v[10:11], v[18:19], v[36:37]
	v_add_f64 v[8:9], v[20:21], v[14:15]
	v_fma_f64 v[10:11], v[10:11], -0.5, v[20:21]
	v_add_f64 v[8:9], v[8:9], v[18:19]
	v_fma_f64 v[12:13], v[24:25], s[16:17], v[10:11]
	v_fma_f64 v[10:11], v[24:25], s[14:15], v[10:11]
	v_add_f64 v[8:9], v[8:9], v[36:37]
	v_add_f64 v[36:37], v[18:19], -v[36:37]
	v_add_f64 v[18:19], v[26:27], -v[28:29]
	v_fma_f64 v[12:13], v[57:58], s[6:7], v[12:13]
	v_fma_f64 v[10:11], v[57:58], s[18:19], v[10:11]
	v_add_f64 v[8:9], v[8:9], v[40:41]
	v_fma_f64 v[12:13], v[16:17], s[12:13], v[12:13]
	v_fma_f64 v[16:17], v[16:17], s[12:13], v[10:11]
	v_add_f64 v[10:11], v[14:15], v[40:41]
	v_add_f64 v[40:41], v[14:15], -v[40:41]
	v_fma_f64 v[10:11], v[10:11], -0.5, v[20:21]
	v_fma_f64 v[20:21], v[57:58], s[14:15], v[10:11]
	v_fma_f64 v[10:11], v[57:58], s[16:17], v[10:11]
	v_add_f64 v[57:58], v[28:29], v[30:31]
	v_fma_f64 v[20:21], v[24:25], s[6:7], v[20:21]
	v_fma_f64 v[10:11], v[24:25], s[18:19], v[10:11]
	v_fma_f64 v[57:58], v[57:58], -0.5, v[22:23]
	v_fma_f64 v[20:21], v[74:75], s[12:13], v[20:21]
	v_fma_f64 v[24:25], v[74:75], s[12:13], v[10:11]
	;; [unrolled: 1-line block ×3, first 2 shown]
	v_add_f64 v[74:75], v[32:33], -v[30:31]
	v_fma_f64 v[57:58], v[40:41], s[16:17], v[57:58]
	v_add_f64 v[10:11], v[22:23], v[26:27]
	v_fma_f64 v[14:15], v[36:37], s[18:19], v[14:15]
	v_add_f64 v[18:19], v[18:19], v[74:75]
	;; [unrolled: 2-line block ×3, first 2 shown]
	v_add_f64 v[74:75], v[72:73], -v[172:173]
	v_fma_f64 v[14:15], v[18:19], s[12:13], v[14:15]
	v_fma_f64 v[18:19], v[18:19], s[12:13], v[57:58]
	v_add_f64 v[57:58], v[26:27], v[32:33]
	v_add_f64 v[26:27], v[28:29], -v[26:27]
	v_add_f64 v[28:29], v[30:31], -v[32:33]
	v_add_f64 v[10:11], v[10:11], v[30:31]
	v_add_f64 v[30:31], v[38:39], v[172:173]
	v_fma_f64 v[57:58], v[57:58], -0.5, v[22:23]
	v_add_f64 v[26:27], v[26:27], v[28:29]
	v_add_f64 v[10:11], v[10:11], v[32:33]
	v_fma_f64 v[30:31], v[30:31], -0.5, v[4:5]
	v_fma_f64 v[22:23], v[36:37], s[16:17], v[57:58]
	v_fma_f64 v[28:29], v[36:37], s[14:15], v[57:58]
	v_add_f64 v[57:58], v[168:169], -v[62:63]
	v_add_f64 v[36:37], v[34:35], -v[38:39]
	v_fma_f64 v[22:23], v[40:41], s[18:19], v[22:23]
	v_fma_f64 v[28:29], v[40:41], s[6:7], v[28:29]
	v_add_f64 v[40:41], v[42:43], -v[64:65]
	v_add_f64 v[74:75], v[36:37], v[74:75]
	v_fma_f64 v[22:23], v[26:27], s[12:13], v[22:23]
	v_fma_f64 v[26:27], v[26:27], s[12:13], v[28:29]
	;; [unrolled: 1-line block ×4, first 2 shown]
	v_add_f64 v[28:29], v[4:5], v[34:35]
	v_fma_f64 v[32:33], v[57:58], s[6:7], v[32:33]
	v_fma_f64 v[30:31], v[57:58], s[18:19], v[30:31]
	v_add_f64 v[28:29], v[28:29], v[38:39]
	v_fma_f64 v[36:37], v[74:75], s[12:13], v[32:33]
	v_fma_f64 v[32:33], v[74:75], s[12:13], v[30:31]
	v_add_f64 v[30:31], v[34:35], v[72:73]
	v_add_f64 v[28:29], v[28:29], v[172:173]
	v_add_f64 v[74:75], v[38:39], -v[34:35]
	v_fma_f64 v[30:31], v[30:31], -0.5, v[4:5]
	v_add_f64 v[28:29], v[28:29], v[72:73]
	v_add_f64 v[74:75], v[74:75], v[76:77]
	v_add_f64 v[72:73], v[34:35], -v[72:73]
	v_add_f64 v[76:77], v[64:65], -v[62:63]
	v_fma_f64 v[4:5], v[57:58], s[14:15], v[30:31]
	v_fma_f64 v[30:31], v[57:58], s[16:17], v[30:31]
	v_add_f64 v[57:58], v[168:169], v[62:63]
	v_fma_f64 v[4:5], v[40:41], s[6:7], v[4:5]
	v_fma_f64 v[30:31], v[40:41], s[18:19], v[30:31]
	v_fma_f64 v[57:58], v[57:58], -0.5, v[6:7]
	v_fma_f64 v[4:5], v[74:75], s[12:13], v[4:5]
	v_fma_f64 v[40:41], v[74:75], s[12:13], v[30:31]
	;; [unrolled: 1-line block ×3, first 2 shown]
	v_add_f64 v[74:75], v[38:39], -v[172:173]
	v_add_f64 v[38:39], v[42:43], -v[168:169]
	v_add_f64 v[30:31], v[6:7], v[42:43]
	v_fma_f64 v[34:35], v[74:75], s[18:19], v[34:35]
	v_add_f64 v[76:77], v[38:39], v[76:77]
	v_add_f64 v[30:31], v[30:31], v[168:169]
	v_fma_f64 v[38:39], v[76:77], s[12:13], v[34:35]
	v_fma_f64 v[34:35], v[72:73], s[16:17], v[57:58]
	v_add_f64 v[57:58], v[42:43], v[64:65]
	v_add_f64 v[30:31], v[30:31], v[62:63]
	v_add_f64 v[42:43], v[168:169], -v[42:43]
	v_add_f64 v[62:63], v[62:63], -v[64:65]
	v_fma_f64 v[34:35], v[74:75], s[6:7], v[34:35]
	v_fma_f64 v[57:58], v[57:58], -0.5, v[6:7]
	v_add_f64 v[30:31], v[30:31], v[64:65]
	v_add_f64 v[64:65], v[46:47], -v[60:61]
	v_add_f64 v[42:43], v[42:43], v[62:63]
	v_fma_f64 v[34:35], v[76:77], s[12:13], v[34:35]
	v_fma_f64 v[6:7], v[74:75], s[16:17], v[57:58]
	;; [unrolled: 1-line block ×3, first 2 shown]
	v_add_f64 v[74:75], v[48:49], -v[50:51]
	v_add_f64 v[76:77], v[66:67], -v[68:69]
	v_fma_f64 v[6:7], v[72:73], s[18:19], v[6:7]
	v_fma_f64 v[57:58], v[72:73], s[6:7], v[57:58]
	v_add_f64 v[76:77], v[76:77], v[78:79]
	v_add_f64 v[78:79], v[68:69], -v[66:67]
	v_fma_f64 v[6:7], v[42:43], s[12:13], v[6:7]
	v_fma_f64 v[42:43], v[42:43], s[12:13], v[57:58]
	v_add_f64 v[57:58], v[0:1], v[66:67]
	ds_write_b128 v182, v[8:11]
	ds_write_b128 v182, v[12:15] offset:1456
	ds_write_b128 v182, v[20:23] offset:2912
	;; [unrolled: 1-line block ×9, first 2 shown]
	v_add_f64 v[78:79], v[78:79], v[80:81]
	v_add_f64 v[80:81], v[60:61], -v[50:51]
	v_and_b32_e32 v4, 0xffff, v56
	v_lshl_add_u32 v4, v4, 4, v196
	v_add_f64 v[57:58], v[57:58], v[68:69]
	v_add_f64 v[57:58], v[57:58], v[70:71]
	;; [unrolled: 1-line block ×4, first 2 shown]
	v_add_f64 v[68:69], v[68:69], -v[70:71]
	v_fma_f64 v[57:58], v[57:58], -0.5, v[0:1]
	v_fma_f64 v[72:73], v[64:65], s[16:17], v[57:58]
	v_fma_f64 v[57:58], v[64:65], s[14:15], v[57:58]
	;; [unrolled: 1-line block ×6, first 2 shown]
	v_add_f64 v[57:58], v[66:67], v[170:171]
	v_add_f64 v[66:67], v[66:67], -v[170:171]
	v_fma_f64 v[57:58], v[57:58], -0.5, v[0:1]
	v_fma_f64 v[0:1], v[74:75], s[14:15], v[57:58]
	v_fma_f64 v[57:58], v[74:75], s[16:17], v[57:58]
	v_add_f64 v[74:75], v[48:49], v[50:51]
	v_fma_f64 v[0:1], v[64:65], s[6:7], v[0:1]
	v_fma_f64 v[57:58], v[64:65], s[18:19], v[57:58]
	v_add_f64 v[64:65], v[2:3], v[46:47]
	v_fma_f64 v[0:1], v[78:79], s[12:13], v[0:1]
	v_fma_f64 v[57:58], v[78:79], s[12:13], v[57:58]
	v_fma_f64 v[78:79], v[74:75], -0.5, v[2:3]
	v_add_f64 v[64:65], v[64:65], v[48:49]
	v_fma_f64 v[74:75], v[66:67], s[14:15], v[78:79]
	v_add_f64 v[64:65], v[64:65], v[50:51]
	v_fma_f64 v[70:71], v[68:69], s[18:19], v[74:75]
	v_add_f64 v[74:75], v[46:47], -v[48:49]
	v_add_f64 v[64:65], v[64:65], v[60:61]
	v_add_f64 v[80:81], v[74:75], v[80:81]
	v_fma_f64 v[74:75], v[80:81], s[12:13], v[70:71]
	v_fma_f64 v[70:71], v[66:67], s[16:17], v[78:79]
	;; [unrolled: 1-line block ×4, first 2 shown]
	v_add_f64 v[70:71], v[46:47], v[60:61]
	v_add_f64 v[46:47], v[48:49], -v[46:47]
	v_add_f64 v[48:49], v[50:51], -v[60:61]
	v_fma_f64 v[70:71], v[70:71], -0.5, v[2:3]
	v_add_f64 v[46:47], v[46:47], v[48:49]
	v_fma_f64 v[2:3], v[68:69], s[16:17], v[70:71]
	v_fma_f64 v[48:49], v[68:69], s[14:15], v[70:71]
	;; [unrolled: 1-line block ×4, first 2 shown]
	s_mov_b32 s7, 0xbfebb67a
	v_fma_f64 v[2:3], v[46:47], s[12:13], v[2:3]
	v_fma_f64 v[59:60], v[46:47], s[12:13], v[48:49]
	v_add_co_u32 v46, s1, 0x1ba0, v54
	v_add_co_ci_u32_e64 v47, s1, 0, v55, s1
	v_add_co_u32 v54, s1, 0x1800, v54
	v_add_co_ci_u32_e64 v55, s1, 0, v55, s1
	ds_write_b128 v4, v[62:65] offset:14560
	ds_write_b128 v4, v[72:75] offset:16016
	;; [unrolled: 1-line block ×4, first 2 shown]
	buffer_store_dword v4, off, s[48:51], 0 offset:588 ; 4-byte Folded Spill
	ds_write_b128 v4, v[76:79] offset:20384
	s_waitcnt lgkmcnt(0)
	s_waitcnt_vscnt null, 0x0
	s_barrier
	buffer_gl0_inv
	ds_read_b128 v[16:19], v182
	ds_read_b128 v[48:51], v182 offset:7280
	ds_read_b128 v[56:59], v182 offset:14560
	;; [unrolled: 1-line block ×14, first 2 shown]
	s_clause 0x1
	global_load_dwordx4 v[60:63], v[54:55], off offset:928
	global_load_dwordx4 v[64:67], v[46:47], off offset:16
	s_waitcnt vmcnt(1) lgkmcnt(13)
	v_mul_f64 v[46:47], v[50:51], v[62:63]
	s_waitcnt vmcnt(0) lgkmcnt(12)
	v_mul_f64 v[54:55], v[56:57], v[66:67]
	v_fma_f64 v[46:47], v[48:49], v[60:61], -v[46:47]
	v_mul_f64 v[48:49], v[48:49], v[62:63]
	buffer_store_dword v60, off, s[48:51], 0 offset:524 ; 4-byte Folded Spill
	buffer_store_dword v61, off, s[48:51], 0 offset:528 ; 4-byte Folded Spill
	;; [unrolled: 1-line block ×4, first 2 shown]
	v_fma_f64 v[50:51], v[50:51], v[60:61], v[48:49]
	v_mul_f64 v[48:49], v[58:59], v[66:67]
	v_fma_f64 v[48:49], v[56:57], v[64:65], -v[48:49]
	buffer_store_dword v64, off, s[48:51], 0 offset:540 ; 4-byte Folded Spill
	buffer_store_dword v65, off, s[48:51], 0 offset:544 ; 4-byte Folded Spill
	;; [unrolled: 1-line block ×4, first 2 shown]
	v_fma_f64 v[248:249], v[58:59], v[64:65], v[54:55]
	v_lshlrev_b32_e32 v54, 5, v86
	v_add_co_u32 v56, s1, s4, v54
	v_add_co_ci_u32_e64 v57, null, s5, 0, s1
	v_add_co_u32 v54, s1, 0x1ba0, v56
	v_add_co_ci_u32_e64 v55, s1, 0, v57, s1
	v_add_co_u32 v56, s1, 0x1800, v56
	v_add_co_ci_u32_e64 v57, s1, 0, v57, s1
	s_clause 0x1
	global_load_dwordx4 v[56:59], v[56:57], off offset:928
	global_load_dwordx4 v[62:65], v[54:55], off offset:16
	s_waitcnt vmcnt(1) lgkmcnt(10)
	v_mul_f64 v[54:55], v[42:43], v[58:59]
	v_fma_f64 v[60:61], v[40:41], v[56:57], -v[54:55]
	v_mul_f64 v[40:41], v[40:41], v[58:59]
	buffer_store_dword v56, off, s[48:51], 0 offset:592 ; 4-byte Folded Spill
	buffer_store_dword v57, off, s[48:51], 0 offset:596 ; 4-byte Folded Spill
	;; [unrolled: 1-line block ×4, first 2 shown]
	v_fma_f64 v[42:43], v[42:43], v[56:57], v[40:41]
	s_waitcnt vmcnt(0) lgkmcnt(9)
	v_mul_f64 v[40:41], v[38:39], v[64:65]
	v_fma_f64 v[40:41], v[36:37], v[62:63], -v[40:41]
	v_mul_f64 v[36:37], v[36:37], v[64:65]
	buffer_store_dword v62, off, s[48:51], 0 offset:608 ; 4-byte Folded Spill
	buffer_store_dword v63, off, s[48:51], 0 offset:612 ; 4-byte Folded Spill
	;; [unrolled: 1-line block ×4, first 2 shown]
	v_fma_f64 v[36:37], v[38:39], v[62:63], v[36:37]
	v_lshlrev_b32_e32 v38, 5, v52
	v_add_co_u32 v52, s1, s4, v38
	v_add_co_ci_u32_e64 v55, null, s5, 0, s1
	v_add_co_u32 v38, s1, 0x1ba0, v52
	v_add_co_ci_u32_e64 v39, s1, 0, v55, s1
	v_add_co_u32 v54, s1, 0x1800, v52
	v_add_co_ci_u32_e64 v55, s1, 0, v55, s1
	s_clause 0x1
	global_load_dwordx4 v[62:65], v[54:55], off offset:928
	global_load_dwordx4 v[54:57], v[38:39], off offset:16
	s_waitcnt vmcnt(1) lgkmcnt(7)
	v_mul_f64 v[38:39], v[34:35], v[64:65]
	v_fma_f64 v[38:39], v[32:33], v[62:63], -v[38:39]
	v_mul_f64 v[32:33], v[32:33], v[64:65]
	buffer_store_dword v62, off, s[48:51], 0 offset:640 ; 4-byte Folded Spill
	buffer_store_dword v63, off, s[48:51], 0 offset:644 ; 4-byte Folded Spill
	;; [unrolled: 1-line block ×4, first 2 shown]
	v_fma_f64 v[34:35], v[34:35], v[62:63], v[32:33]
	s_waitcnt vmcnt(0) lgkmcnt(6)
	v_mul_f64 v[32:33], v[30:31], v[56:57]
	v_fma_f64 v[32:33], v[28:29], v[54:55], -v[32:33]
	v_mul_f64 v[28:29], v[28:29], v[56:57]
	buffer_store_dword v54, off, s[48:51], 0 offset:624 ; 4-byte Folded Spill
	buffer_store_dword v55, off, s[48:51], 0 offset:628 ; 4-byte Folded Spill
	;; [unrolled: 1-line block ×4, first 2 shown]
	v_fma_f64 v[28:29], v[30:31], v[54:55], v[28:29]
	v_add_nc_u32_e32 v30, 0x2220, v53
	v_add_co_u32 v52, s1, s4, v30
	v_add_co_ci_u32_e64 v55, null, s5, 0, s1
	v_add_co_u32 v30, s1, 0x1ba0, v52
	v_add_co_ci_u32_e64 v31, s1, 0, v55, s1
	v_add_co_u32 v54, s1, 0x1800, v52
	v_add_co_ci_u32_e64 v55, s1, 0, v55, s1
	s_clause 0x1
	global_load_dwordx4 v[54:57], v[54:55], off offset:928
	global_load_dwordx4 v[62:65], v[30:31], off offset:16
	s_waitcnt vmcnt(1) lgkmcnt(4)
	v_mul_f64 v[30:31], v[26:27], v[56:57]
	v_fma_f64 v[30:31], v[24:25], v[54:55], -v[30:31]
	v_mul_f64 v[24:25], v[24:25], v[56:57]
	buffer_store_dword v54, off, s[48:51], 0 offset:656 ; 4-byte Folded Spill
	buffer_store_dword v55, off, s[48:51], 0 offset:660 ; 4-byte Folded Spill
	;; [unrolled: 1-line block ×4, first 2 shown]
	v_fma_f64 v[26:27], v[26:27], v[54:55], v[24:25]
	s_waitcnt vmcnt(0) lgkmcnt(3)
	v_mul_f64 v[24:25], v[22:23], v[64:65]
	v_fma_f64 v[24:25], v[20:21], v[62:63], -v[24:25]
	v_mul_f64 v[20:21], v[20:21], v[64:65]
	buffer_store_dword v62, off, s[48:51], 0 offset:672 ; 4-byte Folded Spill
	buffer_store_dword v63, off, s[48:51], 0 offset:676 ; 4-byte Folded Spill
	;; [unrolled: 1-line block ×4, first 2 shown]
	v_fma_f64 v[20:21], v[22:23], v[62:63], v[20:21]
	v_add_nc_u32_e32 v22, 0x2d80, v53
	v_add_co_u32 v52, s1, s4, v22
	v_add_co_ci_u32_e64 v53, null, s5, 0, s1
	s_mov_b32 s4, 0xe8584caa
	v_add_co_u32 v22, s1, 0x1ba0, v52
	v_add_co_ci_u32_e64 v23, s1, 0, v53, s1
	v_add_co_u32 v52, s1, 0x1800, v52
	v_add_co_ci_u32_e64 v53, s1, 0, v53, s1
	s_clause 0x1
	global_load_dwordx4 v[56:59], v[52:53], off offset:928
	global_load_dwordx4 v[52:55], v[22:23], off offset:16
	s_mov_b32 s5, 0x3febb67a
	s_mov_b32 s6, s4
	s_waitcnt vmcnt(1) lgkmcnt(1)
	v_mul_f64 v[22:23], v[246:247], v[58:59]
	v_fma_f64 v[66:67], v[244:245], v[56:57], -v[22:23]
	v_mul_f64 v[22:23], v[244:245], v[58:59]
	buffer_store_dword v56, off, s[48:51], 0 offset:704 ; 4-byte Folded Spill
	buffer_store_dword v57, off, s[48:51], 0 offset:708 ; 4-byte Folded Spill
	;; [unrolled: 1-line block ×4, first 2 shown]
	v_fma_f64 v[68:69], v[246:247], v[56:57], v[22:23]
	s_waitcnt vmcnt(0) lgkmcnt(0)
	v_mul_f64 v[22:23], v[242:243], v[54:55]
	v_fma_f64 v[70:71], v[240:241], v[52:53], -v[22:23]
	v_mul_f64 v[22:23], v[240:241], v[54:55]
	buffer_store_dword v52, off, s[48:51], 0 offset:688 ; 4-byte Folded Spill
	buffer_store_dword v53, off, s[48:51], 0 offset:692 ; 4-byte Folded Spill
	buffer_store_dword v54, off, s[48:51], 0 offset:696 ; 4-byte Folded Spill
	buffer_store_dword v55, off, s[48:51], 0 offset:700 ; 4-byte Folded Spill
	v_add_f64 v[54:55], v[50:51], -v[248:249]
	v_fma_f64 v[72:73], v[242:243], v[52:53], v[22:23]
	v_add_f64 v[22:23], v[16:17], v[46:47]
	v_add_f64 v[52:53], v[22:23], v[48:49]
	;; [unrolled: 1-line block ×3, first 2 shown]
	v_add_f64 v[46:47], v[46:47], -v[48:49]
	v_add_f64 v[48:49], v[42:43], -v[36:37]
	v_fma_f64 v[22:23], v[22:23], -0.5, v[16:17]
	v_fma_f64 v[16:17], v[54:55], s[4:5], v[22:23]
	v_fma_f64 v[56:57], v[54:55], s[6:7], v[22:23]
	v_add_f64 v[22:23], v[18:19], v[50:51]
	v_add_f64 v[54:55], v[22:23], v[248:249]
	v_add_f64 v[22:23], v[50:51], v[248:249]
	ds_write_b128 v182, v[52:55]
	v_fma_f64 v[22:23], v[22:23], -0.5, v[18:19]
	buffer_store_dword v183, off, s[48:51], 0 offset:68 ; 4-byte Folded Spill
	buffer_store_dword v196, off, s[48:51], 0 ; 4-byte Folded Spill
	v_lshl_add_u32 v183, v183, 4, v196
	v_fma_f64 v[18:19], v[46:47], s[6:7], v[22:23]
	v_fma_f64 v[58:59], v[46:47], s[4:5], v[22:23]
	v_add_f64 v[22:23], v[12:13], v[60:61]
	v_add_f64 v[46:47], v[22:23], v[40:41]
	v_add_f64 v[22:23], v[60:61], v[40:41]
	v_fma_f64 v[22:23], v[22:23], -0.5, v[12:13]
	v_fma_f64 v[12:13], v[48:49], s[4:5], v[22:23]
	v_fma_f64 v[62:63], v[48:49], s[6:7], v[22:23]
	v_add_f64 v[22:23], v[14:15], v[42:43]
	v_add_f64 v[48:49], v[22:23], v[36:37]
	;; [unrolled: 1-line block ×3, first 2 shown]
	v_add_f64 v[36:37], v[60:61], -v[40:41]
	v_fma_f64 v[22:23], v[22:23], -0.5, v[14:15]
	v_fma_f64 v[14:15], v[36:37], s[6:7], v[22:23]
	v_fma_f64 v[64:65], v[36:37], s[4:5], v[22:23]
	v_add_f64 v[22:23], v[8:9], v[38:39]
	v_add_f64 v[36:37], v[34:35], -v[28:29]
	v_add_f64 v[40:41], v[22:23], v[32:33]
	v_add_f64 v[22:23], v[38:39], v[32:33]
	v_fma_f64 v[22:23], v[22:23], -0.5, v[8:9]
	v_fma_f64 v[8:9], v[36:37], s[4:5], v[22:23]
	v_fma_f64 v[36:37], v[36:37], s[6:7], v[22:23]
	v_add_f64 v[22:23], v[10:11], v[34:35]
	v_add_f64 v[42:43], v[22:23], v[28:29]
	;; [unrolled: 1-line block ×3, first 2 shown]
	v_add_f64 v[28:29], v[38:39], -v[32:33]
	v_fma_f64 v[22:23], v[22:23], -0.5, v[10:11]
	v_fma_f64 v[10:11], v[28:29], s[6:7], v[22:23]
	v_fma_f64 v[38:39], v[28:29], s[4:5], v[22:23]
	v_add_f64 v[22:23], v[4:5], v[30:31]
	v_add_f64 v[28:29], v[26:27], -v[20:21]
	v_add_f64 v[32:33], v[22:23], v[24:25]
	v_add_f64 v[22:23], v[30:31], v[24:25]
	v_add_f64 v[24:25], v[30:31], -v[24:25]
	v_fma_f64 v[22:23], v[22:23], -0.5, v[4:5]
	v_fma_f64 v[4:5], v[28:29], s[4:5], v[22:23]
	v_fma_f64 v[22:23], v[28:29], s[6:7], v[22:23]
	v_add_f64 v[28:29], v[6:7], v[26:27]
	v_add_f64 v[34:35], v[28:29], v[20:21]
	;; [unrolled: 1-line block ×3, first 2 shown]
	v_fma_f64 v[20:21], v[20:21], -0.5, v[6:7]
	v_fma_f64 v[6:7], v[24:25], s[6:7], v[20:21]
	v_fma_f64 v[24:25], v[24:25], s[4:5], v[20:21]
	v_add_f64 v[20:21], v[0:1], v[66:67]
	v_add_f64 v[26:27], v[20:21], v[70:71]
	;; [unrolled: 1-line block ×3, first 2 shown]
	v_fma_f64 v[0:1], v[20:21], -0.5, v[0:1]
	v_add_f64 v[20:21], v[68:69], -v[72:73]
	v_fma_f64 v[240:241], v[20:21], s[4:5], v[0:1]
	v_fma_f64 v[244:245], v[20:21], s[6:7], v[0:1]
	v_add_f64 v[0:1], v[2:3], v[68:69]
	v_add_f64 v[28:29], v[0:1], v[72:73]
	;; [unrolled: 1-line block ×3, first 2 shown]
	v_fma_f64 v[0:1], v[0:1], -0.5, v[2:3]
	v_add_f64 v[2:3], v[66:67], -v[70:71]
	v_fma_f64 v[242:243], v[2:3], s[6:7], v[0:1]
	v_fma_f64 v[246:247], v[2:3], s[4:5], v[0:1]
	v_add_co_u32 v0, s1, 0x5550, v44
	v_add_co_ci_u32_e64 v1, s1, 0, v45, s1
	ds_write_b128 v183, v[16:19] offset:7280
	ds_write_b128 v183, v[56:59] offset:14560
	;; [unrolled: 1-line block ×14, first 2 shown]
	v_add_co_u32 v6, s1, 0x5000, v44
	v_add_co_ci_u32_e64 v7, s1, 0, v45, s1
	s_waitcnt lgkmcnt(0)
	s_waitcnt_vscnt null, 0x0
	s_barrier
	buffer_gl0_inv
	ds_read_b128 v[2:5], v182
	buffer_store_dword v6, off, s[48:51], 0 offset:892 ; 4-byte Folded Spill
	buffer_store_dword v7, off, s[48:51], 0 offset:896 ; 4-byte Folded Spill
	global_load_dwordx4 v[6:9], v[6:7], off offset:1360
	s_waitcnt vmcnt(0) lgkmcnt(0)
	v_mul_f64 v[10:11], v[4:5], v[8:9]
	v_fma_f64 v[10:11], v[2:3], v[6:7], -v[10:11]
	v_mul_f64 v[2:3], v[2:3], v[8:9]
	v_fma_f64 v[12:13], v[4:5], v[6:7], v[2:3]
	global_load_dwordx4 v[6:9], v[0:1], off offset:1680
	ds_read_b128 v[2:5], v182 offset:1680
	ds_write_b128 v182, v[10:13]
	s_waitcnt vmcnt(0) lgkmcnt(1)
	v_mul_f64 v[10:11], v[4:5], v[8:9]
	v_fma_f64 v[10:11], v[2:3], v[6:7], -v[10:11]
	v_mul_f64 v[2:3], v[2:3], v[8:9]
	v_fma_f64 v[12:13], v[4:5], v[6:7], v[2:3]
	v_add_co_u32 v6, s1, 0x6000, v44
	v_add_co_ci_u32_e64 v7, s1, 0, v45, s1
	ds_read_b128 v[2:5], v182 offset:3360
	v_add_co_u32 v14, s1, 0x6800, v44
	global_load_dwordx4 v[6:9], v[6:7], off offset:624
	v_add_co_ci_u32_e64 v15, s1, 0, v45, s1
	ds_write_b128 v182, v[10:13] offset:1680
	s_waitcnt vmcnt(0) lgkmcnt(1)
	v_mul_f64 v[10:11], v[4:5], v[8:9]
	v_fma_f64 v[10:11], v[2:3], v[6:7], -v[10:11]
	v_mul_f64 v[2:3], v[2:3], v[8:9]
	v_fma_f64 v[12:13], v[4:5], v[6:7], v[2:3]
	global_load_dwordx4 v[6:9], v[14:15], off offset:256
	ds_read_b128 v[2:5], v182 offset:5040
	ds_write_b128 v182, v[10:13] offset:3360
	s_waitcnt vmcnt(0) lgkmcnt(1)
	v_mul_f64 v[10:11], v[4:5], v[8:9]
	v_fma_f64 v[10:11], v[2:3], v[6:7], -v[10:11]
	v_mul_f64 v[2:3], v[2:3], v[8:9]
	v_fma_f64 v[12:13], v[4:5], v[6:7], v[2:3]
	global_load_dwordx4 v[6:9], v[14:15], off offset:1936
	ds_read_b128 v[2:5], v182 offset:6720
	ds_write_b128 v182, v[10:13] offset:5040
	s_waitcnt vmcnt(0) lgkmcnt(1)
	v_mul_f64 v[10:11], v[4:5], v[8:9]
	v_fma_f64 v[10:11], v[2:3], v[6:7], -v[10:11]
	v_mul_f64 v[2:3], v[2:3], v[8:9]
	v_fma_f64 v[12:13], v[4:5], v[6:7], v[2:3]
	v_add_co_u32 v6, s1, 0x7000, v44
	v_add_co_ci_u32_e64 v7, s1, 0, v45, s1
	ds_read_b128 v[2:5], v182 offset:8400
	global_load_dwordx4 v[6:9], v[6:7], off offset:1568
	ds_write_b128 v182, v[10:13] offset:6720
	s_waitcnt vmcnt(0) lgkmcnt(1)
	v_mul_f64 v[10:11], v[4:5], v[8:9]
	v_fma_f64 v[10:11], v[2:3], v[6:7], -v[10:11]
	v_mul_f64 v[2:3], v[2:3], v[8:9]
	v_fma_f64 v[12:13], v[4:5], v[6:7], v[2:3]
	v_add_co_u32 v6, s1, 0x7800, v44
	v_add_co_ci_u32_e64 v7, s1, 0, v45, s1
	ds_read_b128 v[2:5], v182 offset:10080
	global_load_dwordx4 v[6:9], v[6:7], off offset:1200
	;; [unrolled: 10-line block ×3, first 2 shown]
	ds_write_b128 v182, v[10:13] offset:10080
	s_waitcnt vmcnt(0) lgkmcnt(1)
	v_mul_f64 v[10:11], v[4:5], v[8:9]
	v_fma_f64 v[10:11], v[2:3], v[6:7], -v[10:11]
	v_mul_f64 v[2:3], v[2:3], v[8:9]
	v_fma_f64 v[12:13], v[4:5], v[6:7], v[2:3]
	v_add_co_u32 v6, s1, 0x8800, v44
	v_add_co_ci_u32_e64 v7, s1, 0, v45, s1
	ds_read_b128 v[2:5], v182 offset:13440
	v_add_co_u32 v14, s1, 0x9000, v44
	global_load_dwordx4 v[6:9], v[6:7], off offset:464
	v_add_co_ci_u32_e64 v15, s1, 0, v45, s1
	ds_write_b128 v182, v[10:13] offset:11760
	s_waitcnt vmcnt(0) lgkmcnt(1)
	v_mul_f64 v[10:11], v[4:5], v[8:9]
	v_fma_f64 v[10:11], v[2:3], v[6:7], -v[10:11]
	v_mul_f64 v[2:3], v[2:3], v[8:9]
	v_fma_f64 v[12:13], v[4:5], v[6:7], v[2:3]
	global_load_dwordx4 v[6:9], v[14:15], off offset:96
	ds_read_b128 v[2:5], v182 offset:15120
	ds_write_b128 v182, v[10:13] offset:13440
	s_waitcnt vmcnt(0) lgkmcnt(1)
	v_mul_f64 v[10:11], v[4:5], v[8:9]
	v_fma_f64 v[10:11], v[2:3], v[6:7], -v[10:11]
	v_mul_f64 v[2:3], v[2:3], v[8:9]
	v_fma_f64 v[12:13], v[4:5], v[6:7], v[2:3]
	global_load_dwordx4 v[6:9], v[14:15], off offset:1776
	ds_read_b128 v[2:5], v182 offset:16800
	ds_write_b128 v182, v[10:13] offset:15120
	s_waitcnt vmcnt(0) lgkmcnt(1)
	v_mul_f64 v[10:11], v[4:5], v[8:9]
	v_fma_f64 v[10:11], v[2:3], v[6:7], -v[10:11]
	v_mul_f64 v[2:3], v[2:3], v[8:9]
	v_fma_f64 v[12:13], v[4:5], v[6:7], v[2:3]
	v_add_co_u32 v6, s1, 0x9800, v44
	v_add_co_ci_u32_e64 v7, s1, 0, v45, s1
	ds_read_b128 v[2:5], v182 offset:18480
	global_load_dwordx4 v[6:9], v[6:7], off offset:1408
	ds_write_b128 v182, v[10:13] offset:16800
	s_waitcnt vmcnt(0) lgkmcnt(1)
	v_mul_f64 v[10:11], v[4:5], v[8:9]
	v_fma_f64 v[10:11], v[2:3], v[6:7], -v[10:11]
	v_mul_f64 v[2:3], v[2:3], v[8:9]
	v_fma_f64 v[12:13], v[4:5], v[6:7], v[2:3]
	v_add_co_u32 v6, s1, 0xa000, v44
	v_add_co_ci_u32_e64 v7, s1, 0, v45, s1
	ds_read_b128 v[2:5], v182 offset:20160
	global_load_dwordx4 v[6:9], v[6:7], off offset:1040
	ds_write_b128 v182, v[10:13] offset:18480
	s_waitcnt vmcnt(0) lgkmcnt(1)
	v_mul_f64 v[10:11], v[4:5], v[8:9]
	v_fma_f64 v[10:11], v[2:3], v[6:7], -v[10:11]
	v_mul_f64 v[2:3], v[2:3], v[8:9]
	v_fma_f64 v[12:13], v[4:5], v[6:7], v[2:3]
	ds_write_b128 v182, v[10:13] offset:20160
	s_and_saveexec_b32 s4, vcc_lo
	s_cbranch_execz .LBB0_13
; %bb.12:
	global_load_dwordx4 v[6:9], v[0:1], off offset:1456
	ds_read_b128 v[2:5], v183 offset:1456
	s_waitcnt vmcnt(0) lgkmcnt(0)
	v_mul_f64 v[10:11], v[4:5], v[8:9]
	v_fma_f64 v[10:11], v[2:3], v[6:7], -v[10:11]
	v_mul_f64 v[2:3], v[2:3], v[8:9]
	v_fma_f64 v[12:13], v[4:5], v[6:7], v[2:3]
	v_add_co_u32 v6, s1, 0x800, v0
	v_add_co_ci_u32_e64 v7, s1, 0, v1, s1
	ds_read_b128 v[2:5], v183 offset:3136
	global_load_dwordx4 v[6:9], v[6:7], off offset:1088
	ds_write_b128 v183, v[10:13] offset:1456
	s_waitcnt vmcnt(0) lgkmcnt(1)
	v_mul_f64 v[10:11], v[4:5], v[8:9]
	v_fma_f64 v[10:11], v[2:3], v[6:7], -v[10:11]
	v_mul_f64 v[2:3], v[2:3], v[8:9]
	v_fma_f64 v[12:13], v[4:5], v[6:7], v[2:3]
	v_add_co_u32 v6, s1, 0x1000, v0
	v_add_co_ci_u32_e64 v7, s1, 0, v1, s1
	ds_read_b128 v[2:5], v183 offset:4816
	v_add_co_u32 v14, s1, 0x1800, v0
	global_load_dwordx4 v[6:9], v[6:7], off offset:720
	v_add_co_ci_u32_e64 v15, s1, 0, v1, s1
	ds_write_b128 v183, v[10:13] offset:3136
	s_waitcnt vmcnt(0) lgkmcnt(1)
	v_mul_f64 v[10:11], v[4:5], v[8:9]
	v_fma_f64 v[10:11], v[2:3], v[6:7], -v[10:11]
	v_mul_f64 v[2:3], v[2:3], v[8:9]
	v_fma_f64 v[12:13], v[4:5], v[6:7], v[2:3]
	global_load_dwordx4 v[6:9], v[14:15], off offset:352
	ds_read_b128 v[2:5], v183 offset:6496
	ds_write_b128 v183, v[10:13] offset:4816
	s_waitcnt vmcnt(0) lgkmcnt(1)
	v_mul_f64 v[10:11], v[4:5], v[8:9]
	v_fma_f64 v[10:11], v[2:3], v[6:7], -v[10:11]
	v_mul_f64 v[2:3], v[2:3], v[8:9]
	v_fma_f64 v[12:13], v[4:5], v[6:7], v[2:3]
	global_load_dwordx4 v[6:9], v[14:15], off offset:2032
	ds_read_b128 v[2:5], v183 offset:8176
	ds_write_b128 v183, v[10:13] offset:6496
	s_waitcnt vmcnt(0) lgkmcnt(1)
	v_mul_f64 v[10:11], v[4:5], v[8:9]
	v_fma_f64 v[10:11], v[2:3], v[6:7], -v[10:11]
	v_mul_f64 v[2:3], v[2:3], v[8:9]
	v_fma_f64 v[12:13], v[4:5], v[6:7], v[2:3]
	v_add_co_u32 v6, s1, 0x2000, v0
	v_add_co_ci_u32_e64 v7, s1, 0, v1, s1
	ds_read_b128 v[2:5], v183 offset:9856
	global_load_dwordx4 v[6:9], v[6:7], off offset:1664
	ds_write_b128 v183, v[10:13] offset:8176
	s_waitcnt vmcnt(0) lgkmcnt(1)
	v_mul_f64 v[10:11], v[4:5], v[8:9]
	v_fma_f64 v[10:11], v[2:3], v[6:7], -v[10:11]
	v_mul_f64 v[2:3], v[2:3], v[8:9]
	v_fma_f64 v[12:13], v[4:5], v[6:7], v[2:3]
	v_add_co_u32 v6, s1, 0x2800, v0
	v_add_co_ci_u32_e64 v7, s1, 0, v1, s1
	ds_read_b128 v[2:5], v183 offset:11536
	global_load_dwordx4 v[6:9], v[6:7], off offset:1296
	;; [unrolled: 10-line block ×3, first 2 shown]
	ds_write_b128 v183, v[10:13] offset:11536
	s_waitcnt vmcnt(0) lgkmcnt(1)
	v_mul_f64 v[10:11], v[4:5], v[8:9]
	v_fma_f64 v[10:11], v[2:3], v[6:7], -v[10:11]
	v_mul_f64 v[2:3], v[2:3], v[8:9]
	v_fma_f64 v[12:13], v[4:5], v[6:7], v[2:3]
	v_add_co_u32 v6, s1, 0x3800, v0
	v_add_co_ci_u32_e64 v7, s1, 0, v1, s1
	ds_read_b128 v[2:5], v183 offset:14896
	v_add_co_u32 v14, s1, 0x4000, v0
	global_load_dwordx4 v[6:9], v[6:7], off offset:560
	v_add_co_ci_u32_e64 v15, s1, 0, v1, s1
	ds_write_b128 v183, v[10:13] offset:13216
	s_waitcnt vmcnt(0) lgkmcnt(1)
	v_mul_f64 v[10:11], v[4:5], v[8:9]
	v_fma_f64 v[10:11], v[2:3], v[6:7], -v[10:11]
	v_mul_f64 v[2:3], v[2:3], v[8:9]
	v_fma_f64 v[12:13], v[4:5], v[6:7], v[2:3]
	global_load_dwordx4 v[6:9], v[14:15], off offset:192
	ds_read_b128 v[2:5], v183 offset:16576
	ds_write_b128 v183, v[10:13] offset:14896
	s_waitcnt vmcnt(0) lgkmcnt(1)
	v_mul_f64 v[10:11], v[4:5], v[8:9]
	v_fma_f64 v[10:11], v[2:3], v[6:7], -v[10:11]
	v_mul_f64 v[2:3], v[2:3], v[8:9]
	v_fma_f64 v[12:13], v[4:5], v[6:7], v[2:3]
	global_load_dwordx4 v[6:9], v[14:15], off offset:1872
	ds_read_b128 v[2:5], v183 offset:18256
	ds_write_b128 v183, v[10:13] offset:16576
	s_waitcnt vmcnt(0) lgkmcnt(1)
	v_mul_f64 v[10:11], v[4:5], v[8:9]
	v_fma_f64 v[10:11], v[2:3], v[6:7], -v[10:11]
	v_mul_f64 v[2:3], v[2:3], v[8:9]
	v_fma_f64 v[12:13], v[4:5], v[6:7], v[2:3]
	v_add_co_u32 v6, s1, 0x4800, v0
	v_add_co_ci_u32_e64 v7, s1, 0, v1, s1
	ds_read_b128 v[2:5], v183 offset:19936
	v_add_co_u32 v0, s1, 0x5000, v0
	global_load_dwordx4 v[6:9], v[6:7], off offset:1504
	v_add_co_ci_u32_e64 v1, s1, 0, v1, s1
	ds_write_b128 v183, v[10:13] offset:18256
	s_waitcnt vmcnt(0) lgkmcnt(1)
	v_mul_f64 v[10:11], v[4:5], v[8:9]
	v_fma_f64 v[10:11], v[2:3], v[6:7], -v[10:11]
	v_mul_f64 v[2:3], v[2:3], v[8:9]
	v_fma_f64 v[12:13], v[4:5], v[6:7], v[2:3]
	global_load_dwordx4 v[6:9], v[0:1], off offset:1136
	ds_read_b128 v[2:5], v183 offset:21616
	ds_write_b128 v183, v[10:13] offset:19936
	s_waitcnt vmcnt(0) lgkmcnt(1)
	v_mul_f64 v[0:1], v[4:5], v[8:9]
	v_fma_f64 v[0:1], v[2:3], v[6:7], -v[0:1]
	v_mul_f64 v[2:3], v[2:3], v[8:9]
	v_fma_f64 v[2:3], v[4:5], v[6:7], v[2:3]
	ds_write_b128 v183, v[0:3] offset:21616
.LBB0_13:
	s_or_b32 exec_lo, exec_lo, s4
	s_waitcnt lgkmcnt(0)
	s_waitcnt_vscnt null, 0x0
	s_barrier
	buffer_gl0_inv
	ds_read_b128 v[0:3], v182
	ds_read_b128 v[8:11], v182 offset:1680
	ds_read_b128 v[24:27], v182 offset:3360
	;; [unrolled: 1-line block ×12, first 2 shown]
	s_and_saveexec_b32 s1, vcc_lo
	s_cbranch_execz .LBB0_15
; %bb.14:
	ds_read_b128 v[240:243], v183 offset:1456
	ds_read_b128 v[244:247], v183 offset:3136
	ds_read_b128 v[154:157], v183 offset:4816
	ds_read_b128 v[142:145], v183 offset:6496
	ds_read_b128 v[150:153], v183 offset:8176
	ds_read_b128 v[146:149], v183 offset:9856
	ds_read_b128 v[134:137], v183 offset:11536
	ds_read_b128 v[138:141], v183 offset:13216
	ds_read_b128 v[230:233], v183 offset:14896
	ds_read_b128 v[226:229], v183 offset:16576
	ds_read_b128 v[222:225], v183 offset:18256
	ds_read_b128 v[218:221], v183 offset:19936
	ds_read_b128 v[214:217], v183 offset:21616
.LBB0_15:
	s_or_b32 exec_lo, exec_lo, s1
	s_waitcnt lgkmcnt(11)
	v_add_f64 v[46:47], v[0:1], v[8:9]
	v_add_f64 v[48:49], v[2:3], v[10:11]
	s_waitcnt lgkmcnt(0)
	v_add_f64 v[50:51], v[10:11], -v[6:7]
	v_add_f64 v[74:75], v[12:13], v[16:17]
	v_add_f64 v[58:59], v[12:13], -v[16:17]
	s_mov_b32 s34, 0x4267c47c
	s_mov_b32 s28, 0x42a4c3d2
	;; [unrolled: 1-line block ×12, first 2 shown]
	v_add_f64 v[66:67], v[24:25], v[248:249]
	v_add_f64 v[64:65], v[24:25], -v[248:249]
	v_add_f64 v[54:55], v[252:253], v[20:21]
	v_add_f64 v[56:57], v[254:255], v[22:23]
	v_add_f64 v[52:53], v[252:253], -v[20:21]
	v_add_f64 v[46:47], v[46:47], v[24:25]
	;; [unrolled: 3-line block ×3, first 2 shown]
	v_add_f64 v[10:11], v[10:11], v[6:7]
	v_mul_f64 v[24:25], v[50:51], s[20:21]
	s_mov_b32 s4, 0xe00740e9
	s_mov_b32 s12, 0x1ea71119
	;; [unrolled: 1-line block ×12, first 2 shown]
	v_add_f64 v[68:69], v[26:27], v[250:251]
	v_add_f64 v[70:71], v[26:27], -v[250:251]
	s_mov_b32 s39, 0x3fddbe06
	s_mov_b32 s37, 0x3fea55e2
	v_add_f64 v[46:47], v[46:47], v[36:37]
	v_add_f64 v[48:49], v[48:49], v[38:39]
	s_mov_b32 s38, s34
	s_mov_b32 s36, s28
	v_mul_f64 v[80:81], v[10:11], s[12:13]
	v_mul_f64 v[82:83], v[10:11], s[18:19]
	;; [unrolled: 1-line block ×4, first 2 shown]
	s_mov_b32 s31, 0x3fefc445
	s_mov_b32 s41, 0x3fedeba7
	;; [unrolled: 1-line block ×8, first 2 shown]
	v_mul_f64 v[128:129], v[72:73], s[22:23]
	v_mul_f64 v[130:131], v[56:57], s[14:15]
	s_barrier
	buffer_gl0_inv
	v_add_f64 v[184:185], v[156:157], -v[220:221]
	v_add_f64 v[46:47], v[46:47], v[28:29]
	v_add_f64 v[48:49], v[48:49], v[30:31]
	v_add_f64 v[186:187], v[154:155], -v[218:219]
	v_add_f64 v[188:189], v[142:143], -v[222:223]
	;; [unrolled: 1-line block ×5, first 2 shown]
	v_mul_f64 v[94:95], v[184:185], s[42:43]
	v_add_f64 v[46:47], v[46:47], v[252:253]
	v_add_f64 v[48:49], v[48:49], v[254:255]
	v_mul_f64 v[238:239], v[186:187], s[26:27]
	v_mul_f64 v[106:107], v[186:187], s[42:43]
	;; [unrolled: 1-line block ×11, first 2 shown]
	v_add_f64 v[46:47], v[46:47], v[12:13]
	v_add_f64 v[48:49], v[48:49], v[14:15]
	;; [unrolled: 1-line block ×6, first 2 shown]
	v_mul_f64 v[20:21], v[50:51], s[28:29]
	v_mul_f64 v[22:23], v[50:51], s[24:25]
	v_add_f64 v[46:47], v[46:47], v[32:33]
	v_add_f64 v[48:49], v[48:49], v[34:35]
	;; [unrolled: 1-line block ×6, first 2 shown]
	v_add_f64 v[36:37], v[36:37], -v[40:41]
	v_add_f64 v[38:39], v[38:39], -v[42:43]
	v_add_f64 v[40:41], v[28:29], v[32:33]
	v_add_f64 v[42:43], v[30:31], v[34:35]
	v_add_f64 v[32:33], v[28:29], -v[32:33]
	v_add_f64 v[34:35], v[30:31], -v[34:35]
	v_add_f64 v[12:13], v[60:61], v[248:249]
	v_add_f64 v[16:17], v[62:63], v[250:251]
	v_add_f64 v[60:61], v[14:15], -v[18:19]
	v_add_f64 v[14:15], v[8:9], v[4:5]
	v_add_f64 v[8:9], v[8:9], -v[4:5]
	v_mul_f64 v[18:19], v[50:51], s[34:35]
	v_add_f64 v[4:5], v[12:13], v[4:5]
	v_add_f64 v[6:7], v[16:17], v[6:7]
	v_mul_f64 v[12:13], v[50:51], s[22:23]
	v_mul_f64 v[16:17], v[50:51], s[26:27]
	v_fma_f64 v[28:29], v[14:15], s[12:13], v[20:21]
	v_fma_f64 v[26:27], v[14:15], s[4:5], v[18:19]
	v_fma_f64 v[18:19], v[14:15], s[4:5], -v[18:19]
	v_fma_f64 v[20:21], v[14:15], s[12:13], -v[20:21]
	v_fma_f64 v[30:31], v[14:15], s[18:19], v[22:23]
	v_fma_f64 v[22:23], v[14:15], s[18:19], -v[22:23]
	v_fma_f64 v[50:51], v[14:15], s[16:17], v[24:25]
	;; [unrolled: 2-line block ×3, first 2 shown]
	v_fma_f64 v[80:81], v[8:9], s[28:29], v[80:81]
	v_fma_f64 v[110:111], v[8:9], s[30:31], v[82:83]
	;; [unrolled: 1-line block ×7, first 2 shown]
	v_mul_f64 v[132:133], v[60:61], s[26:27]
	v_fma_f64 v[62:63], v[14:15], s[14:15], v[12:13]
	v_fma_f64 v[12:13], v[14:15], s[14:15], -v[12:13]
	v_fma_f64 v[78:79], v[14:15], s[6:7], v[16:17]
	v_fma_f64 v[14:15], v[14:15], s[6:7], -v[16:17]
	v_mul_f64 v[16:17], v[10:11], s[4:5]
	v_mul_f64 v[10:11], v[10:11], s[6:7]
	v_add_f64 v[18:19], v[0:1], v[18:19]
	v_add_f64 v[28:29], v[0:1], v[28:29]
	;; [unrolled: 1-line block ×13, first 2 shown]
	v_mul_f64 v[22:23], v[48:49], s[18:19]
	v_mul_f64 v[24:25], v[34:35], s[20:21]
	v_add_f64 v[62:63], v[0:1], v[62:63]
	v_add_f64 v[122:123], v[0:1], v[12:13]
	;; [unrolled: 1-line block ×4, first 2 shown]
	v_fma_f64 v[89:90], v[8:9], s[38:39], v[16:17]
	v_fma_f64 v[16:17], v[8:9], s[34:35], v[16:17]
	;; [unrolled: 1-line block ×4, first 2 shown]
	v_add_f64 v[10:11], v[0:1], v[26:27]
	v_add_f64 v[26:27], v[2:3], v[89:90]
	;; [unrolled: 1-line block ×4, first 2 shown]
	v_mul_f64 v[0:1], v[70:71], s[28:29]
	v_add_f64 v[16:17], v[2:3], v[16:17]
	v_add_f64 v[116:117], v[2:3], v[116:117]
	;; [unrolled: 1-line block ×3, first 2 shown]
	v_mul_f64 v[8:9], v[68:69], s[12:13]
	v_mul_f64 v[20:21], v[38:39], s[24:25]
	v_fma_f64 v[2:3], v[66:67], s[12:13], v[0:1]
	v_fma_f64 v[0:1], v[66:67], s[12:13], -v[0:1]
	v_fma_f64 v[12:13], v[46:47], s[18:19], v[20:21]
	v_add_f64 v[2:3], v[2:3], v[10:11]
	v_fma_f64 v[10:11], v[64:65], s[36:37], v[8:9]
	v_add_f64 v[0:1], v[0:1], v[18:19]
	;; [unrolled: 2-line block ×3, first 2 shown]
	v_add_f64 v[10:11], v[10:11], v[26:27]
	v_fma_f64 v[12:13], v[36:37], s[30:31], v[22:23]
	v_mul_f64 v[26:27], v[42:43], s[16:17]
	v_add_f64 v[8:9], v[8:9], v[16:17]
	v_mul_f64 v[16:17], v[68:69], s[16:17]
	v_add_f64 v[10:11], v[12:13], v[10:11]
	v_fma_f64 v[12:13], v[40:41], s[16:17], v[24:25]
	v_fma_f64 v[18:19], v[64:65], s[40:41], v[16:17]
	v_fma_f64 v[16:17], v[64:65], s[20:21], v[16:17]
	v_add_f64 v[2:3], v[12:13], v[2:3]
	v_fma_f64 v[12:13], v[32:33], s[40:41], v[26:27]
	v_add_f64 v[18:19], v[18:19], v[89:90]
	v_mul_f64 v[89:90], v[42:43], s[14:15]
	v_add_f64 v[16:17], v[16:17], v[80:81]
	v_add_f64 v[10:11], v[12:13], v[10:11]
	v_fma_f64 v[12:13], v[54:55], s[14:15], v[128:129]
	v_add_f64 v[2:3], v[12:13], v[2:3]
	v_fma_f64 v[12:13], v[52:53], s[42:43], v[130:131]
	;; [unrolled: 2-line block ×3, first 2 shown]
	v_add_f64 v[12:13], v[12:13], v[2:3]
	v_mul_f64 v[2:3], v[76:77], s[6:7]
	v_fma_f64 v[14:15], v[58:59], s[44:45], v[2:3]
	v_fma_f64 v[2:3], v[58:59], s[26:27], v[2:3]
	v_add_f64 v[14:15], v[14:15], v[10:11]
	v_fma_f64 v[10:11], v[46:47], s[18:19], -v[20:21]
	ds_write_b128 v84, v[4:7]
	ds_write_b128 v84, v[12:15] offset:16
	v_add_f64 v[12:13], v[144:145], -v[224:225]
	v_add_f64 v[0:1], v[10:11], v[0:1]
	v_fma_f64 v[10:11], v[36:37], s[24:25], v[22:23]
	v_mul_f64 v[234:235], v[12:13], s[38:39]
	v_mul_f64 v[166:167], v[12:13], s[28:29]
	v_add_f64 v[8:9], v[10:11], v[8:9]
	v_fma_f64 v[10:11], v[40:41], s[16:17], -v[24:25]
	v_mul_f64 v[24:25], v[38:39], s[26:27]
	v_add_f64 v[0:1], v[10:11], v[0:1]
	v_fma_f64 v[10:11], v[32:33], s[20:21], v[26:27]
	v_fma_f64 v[20:21], v[46:47], s[6:7], v[24:25]
	v_mul_f64 v[26:27], v[48:49], s[6:7]
	v_add_f64 v[8:9], v[10:11], v[8:9]
	v_fma_f64 v[10:11], v[54:55], s[14:15], -v[128:129]
	v_mul_f64 v[128:129], v[72:73], s[30:31]
	v_add_f64 v[0:1], v[10:11], v[0:1]
	v_fma_f64 v[10:11], v[52:53], s[22:23], v[130:131]
	v_mul_f64 v[130:131], v[56:57], s[18:19]
	v_add_f64 v[8:9], v[10:11], v[8:9]
	v_fma_f64 v[10:11], v[74:75], s[6:7], -v[132:133]
	v_mul_f64 v[132:133], v[60:61], s[38:39]
	v_add_f64 v[2:3], v[2:3], v[8:9]
	v_mul_f64 v[8:9], v[70:71], s[20:21]
	v_add_f64 v[0:1], v[10:11], v[0:1]
	v_fma_f64 v[10:11], v[66:67], s[16:17], v[8:9]
	v_fma_f64 v[8:9], v[66:67], s[16:17], -v[8:9]
	v_add_f64 v[10:11], v[10:11], v[28:29]
	v_mul_f64 v[28:29], v[34:35], s[42:43]
	v_add_f64 v[8:9], v[8:9], v[108:109]
	v_add_f64 v[10:11], v[20:21], v[10:11]
	v_fma_f64 v[20:21], v[36:37], s[44:45], v[26:27]
	v_add_f64 v[18:19], v[20:21], v[18:19]
	v_fma_f64 v[20:21], v[40:41], s[14:15], v[28:29]
	;; [unrolled: 2-line block ×6, first 2 shown]
	v_add_f64 v[20:21], v[20:21], v[10:11]
	v_mul_f64 v[10:11], v[76:77], s[4:5]
	v_fma_f64 v[22:23], v[58:59], s[34:35], v[10:11]
	v_fma_f64 v[10:11], v[58:59], s[38:39], v[10:11]
	v_add_f64 v[22:23], v[22:23], v[18:19]
	v_fma_f64 v[18:19], v[46:47], s[6:7], -v[24:25]
	v_mul_f64 v[24:25], v[68:69], s[6:7]
	v_add_f64 v[8:9], v[18:19], v[8:9]
	v_fma_f64 v[18:19], v[36:37], s[26:27], v[26:27]
	v_fma_f64 v[26:27], v[64:65], s[44:45], v[24:25]
	;; [unrolled: 1-line block ×3, first 2 shown]
	v_add_f64 v[16:17], v[18:19], v[16:17]
	v_fma_f64 v[18:19], v[40:41], s[14:15], -v[28:29]
	v_mul_f64 v[28:29], v[38:39], s[40:41]
	v_add_f64 v[26:27], v[26:27], v[110:111]
	v_add_f64 v[24:25], v[24:25], v[82:83]
	;; [unrolled: 1-line block ×3, first 2 shown]
	v_fma_f64 v[18:19], v[32:33], s[42:43], v[89:90]
	v_add_f64 v[16:17], v[18:19], v[16:17]
	v_fma_f64 v[18:19], v[54:55], s[18:19], -v[128:129]
	v_add_f64 v[8:9], v[18:19], v[8:9]
	v_fma_f64 v[18:19], v[52:53], s[30:31], v[130:131]
	v_add_f64 v[16:17], v[18:19], v[16:17]
	v_fma_f64 v[18:19], v[74:75], s[4:5], -v[132:133]
	v_mul_f64 v[132:133], v[194:195], s[44:45]
	v_add_f64 v[10:11], v[10:11], v[16:17]
	v_mul_f64 v[16:17], v[70:71], s[26:27]
	v_add_f64 v[8:9], v[18:19], v[8:9]
	v_fma_f64 v[18:19], v[66:67], s[6:7], v[16:17]
	v_fma_f64 v[16:17], v[66:67], s[6:7], -v[16:17]
	v_add_f64 v[18:19], v[18:19], v[30:31]
	v_fma_f64 v[30:31], v[46:47], s[16:17], v[28:29]
	v_add_f64 v[16:17], v[16:17], v[118:119]
	v_add_f64 v[18:19], v[30:31], v[18:19]
	v_mul_f64 v[30:31], v[48:49], s[16:17]
	v_fma_f64 v[80:81], v[36:37], s[20:21], v[30:31]
	v_add_f64 v[26:27], v[80:81], v[26:27]
	v_mul_f64 v[80:81], v[34:35], s[38:39]
	v_fma_f64 v[89:90], v[40:41], s[4:5], v[80:81]
	;; [unrolled: 3-line block ×7, first 2 shown]
	v_fma_f64 v[18:19], v[58:59], s[22:23], v[18:19]
	v_add_f64 v[250:251], v[130:131], v[26:27]
	v_fma_f64 v[26:27], v[46:47], s[16:17], -v[28:29]
	v_mul_f64 v[28:29], v[70:71], s[42:43]
	v_mul_f64 v[130:131], v[184:185], s[26:27]
	v_add_f64 v[16:17], v[26:27], v[16:17]
	v_fma_f64 v[26:27], v[36:37], s[40:41], v[30:31]
	v_mul_f64 v[30:31], v[68:69], s[14:15]
	v_add_f64 v[24:25], v[26:27], v[24:25]
	v_fma_f64 v[26:27], v[40:41], s[4:5], -v[80:81]
	v_add_f64 v[16:17], v[26:27], v[16:17]
	v_fma_f64 v[26:27], v[32:33], s[38:39], v[89:90]
	v_add_f64 v[24:25], v[26:27], v[24:25]
	v_fma_f64 v[26:27], v[54:55], s[12:13], -v[108:109]
	v_add_f64 v[16:17], v[26:27], v[16:17]
	v_fma_f64 v[26:27], v[52:53], s[28:29], v[110:111]
	;; [unrolled: 4-line block ×3, first 2 shown]
	v_add_f64 v[16:17], v[26:27], v[16:17]
	v_fma_f64 v[26:27], v[64:65], s[22:23], v[30:31]
	v_fma_f64 v[28:29], v[66:67], s[14:15], -v[28:29]
	v_fma_f64 v[30:31], v[64:65], s[42:43], v[30:31]
	v_add_f64 v[24:25], v[24:25], v[50:51]
	v_mul_f64 v[50:51], v[38:39], s[38:39]
	v_add_f64 v[26:27], v[26:27], v[112:113]
	v_add_f64 v[28:29], v[28:29], v[120:121]
	;; [unrolled: 1-line block ×3, first 2 shown]
	v_fma_f64 v[80:81], v[46:47], s[4:5], v[50:51]
	v_fma_f64 v[50:51], v[46:47], s[4:5], -v[50:51]
	v_add_f64 v[24:25], v[80:81], v[24:25]
	v_mul_f64 v[80:81], v[48:49], s[4:5]
	v_add_f64 v[28:29], v[50:51], v[28:29]
	v_fma_f64 v[82:83], v[36:37], s[34:35], v[80:81]
	v_fma_f64 v[50:51], v[36:37], s[38:39], v[80:81]
	v_add_f64 v[26:27], v[82:83], v[26:27]
	v_mul_f64 v[82:83], v[34:35], s[24:25]
	v_add_f64 v[30:31], v[50:51], v[30:31]
	v_fma_f64 v[89:90], v[40:41], s[18:19], v[82:83]
	v_fma_f64 v[50:51], v[40:41], s[18:19], -v[82:83]
	v_add_f64 v[24:25], v[89:90], v[24:25]
	v_mul_f64 v[89:90], v[42:43], s[18:19]
	v_add_f64 v[28:29], v[50:51], v[28:29]
	v_fma_f64 v[108:109], v[32:33], s[30:31], v[89:90]
	v_fma_f64 v[50:51], v[32:33], s[24:25], v[89:90]
	v_add_f64 v[26:27], v[108:109], v[26:27]
	v_mul_f64 v[108:109], v[72:73], s[44:45]
	v_add_f64 v[30:31], v[50:51], v[30:31]
	;; [unrolled: 10-line block ×3, first 2 shown]
	v_fma_f64 v[118:119], v[74:75], s[12:13], v[112:113]
	v_fma_f64 v[50:51], v[74:75], s[12:13], -v[112:113]
	v_add_f64 v[24:25], v[118:119], v[24:25]
	v_mul_f64 v[118:119], v[76:77], s[12:13]
	v_add_f64 v[252:253], v[50:51], v[28:29]
	v_mul_f64 v[50:51], v[70:71], s[30:31]
	v_mul_f64 v[70:71], v[70:71], s[38:39]
	v_fma_f64 v[80:81], v[58:59], s[36:37], v[118:119]
	v_fma_f64 v[128:129], v[58:59], s[28:29], v[118:119]
	;; [unrolled: 1-line block ×3, first 2 shown]
	v_fma_f64 v[50:51], v[66:67], s[18:19], -v[50:51]
	v_add_f64 v[254:255], v[80:81], v[30:31]
	v_mul_f64 v[80:81], v[38:39], s[28:29]
	v_add_f64 v[28:29], v[28:29], v[62:63]
	v_mul_f64 v[62:63], v[68:69], s[18:19]
	v_mul_f64 v[68:69], v[68:69], s[4:5]
	;; [unrolled: 1-line block ×3, first 2 shown]
	v_add_f64 v[50:51], v[50:51], v[122:123]
	v_add_f64 v[26:27], v[128:129], v[26:27]
	v_mul_f64 v[128:129], v[188:189], s[40:41]
	v_mul_f64 v[122:123], v[190:191], s[38:39]
	v_fma_f64 v[82:83], v[46:47], s[12:13], v[80:81]
	v_fma_f64 v[30:31], v[64:65], s[24:25], v[62:63]
	;; [unrolled: 1-line block ×3, first 2 shown]
	v_add_f64 v[28:29], v[82:83], v[28:29]
	v_mul_f64 v[82:83], v[48:49], s[12:13]
	v_add_f64 v[30:31], v[30:31], v[114:115]
	v_add_f64 v[62:63], v[62:63], v[87:88]
	v_fma_f64 v[85:86], v[36:37], s[36:37], v[82:83]
	v_add_f64 v[30:31], v[85:86], v[30:31]
	v_mul_f64 v[85:86], v[34:35], s[44:45]
	v_mul_f64 v[34:35], v[34:35], s[36:37]
	v_fma_f64 v[89:90], v[40:41], s[6:7], v[85:86]
	v_add_f64 v[28:29], v[89:90], v[28:29]
	v_mul_f64 v[89:90], v[42:43], s[6:7]
	v_fma_f64 v[108:109], v[32:33], s[26:27], v[89:90]
	v_add_f64 v[30:31], v[108:109], v[30:31]
	;; [unrolled: 3-line block ×6, first 2 shown]
	v_fma_f64 v[118:119], v[66:67], s[4:5], v[70:71]
	v_fma_f64 v[66:67], v[66:67], s[4:5], -v[70:71]
	v_fma_f64 v[70:71], v[64:65], s[34:35], v[68:69]
	v_fma_f64 v[64:65], v[64:65], s[38:39], v[68:69]
	v_add_f64 v[68:69], v[118:119], v[78:79]
	v_fma_f64 v[78:79], v[46:47], s[12:13], -v[80:81]
	v_fma_f64 v[80:81], v[46:47], s[14:15], v[38:39]
	v_fma_f64 v[38:39], v[46:47], s[14:15], -v[38:39]
	v_mul_f64 v[46:47], v[48:49], s[14:15]
	v_add_f64 v[66:67], v[66:67], v[124:125]
	v_add_f64 v[64:65], v[64:65], v[126:127]
	v_fma_f64 v[48:49], v[36:37], s[28:29], v[82:83]
	v_add_f64 v[70:71], v[70:71], v[116:117]
	v_mul_f64 v[116:117], v[186:187], s[20:21]
	v_mul_f64 v[126:127], v[12:13], s[40:41]
	;; [unrolled: 1-line block ×3, first 2 shown]
	v_fma_f64 v[82:83], v[36:37], s[42:43], v[46:47]
	v_fma_f64 v[36:37], v[36:37], s[22:23], v[46:47]
	v_add_f64 v[38:39], v[38:39], v[66:67]
	v_fma_f64 v[66:67], v[40:41], s[12:13], v[34:35]
	v_fma_f64 v[34:35], v[40:41], s[12:13], -v[34:35]
	v_add_f64 v[46:47], v[78:79], v[50:51]
	v_add_f64 v[50:51], v[80:81], v[68:69]
	;; [unrolled: 1-line block ×5, first 2 shown]
	v_fma_f64 v[64:65], v[40:41], s[6:7], -v[85:86]
	v_mul_f64 v[40:41], v[42:43], s[12:13]
	v_fma_f64 v[42:43], v[32:33], s[44:45], v[89:90]
	v_add_f64 v[34:35], v[34:35], v[38:39]
	v_fma_f64 v[38:39], v[54:55], s[4:5], -v[108:109]
	v_mul_f64 v[70:71], v[12:13], s[24:25]
	v_add_f64 v[82:83], v[152:153], v[228:229]
	v_mul_f64 v[86:87], v[190:191], s[42:43]
	v_mul_f64 v[108:109], v[192:193], s[42:43]
	v_fma_f64 v[68:69], v[32:33], s[28:29], v[40:41]
	v_fma_f64 v[32:33], v[32:33], s[36:37], v[40:41]
	v_add_f64 v[40:41], v[64:65], v[46:47]
	v_add_f64 v[42:43], v[42:43], v[48:49]
	;; [unrolled: 1-line block ×5, first 2 shown]
	v_mul_f64 v[36:37], v[72:73], s[20:21]
	v_add_f64 v[38:39], v[38:39], v[40:41]
	v_add_f64 v[72:73], v[142:143], v[222:223]
	v_fma_f64 v[50:51], v[54:55], s[16:17], v[36:37]
	v_fma_f64 v[36:37], v[54:55], s[16:17], -v[36:37]
	v_mul_f64 v[54:55], v[56:57], s[16:17]
	v_fma_f64 v[56:57], v[52:53], s[38:39], v[110:111]
	v_mul_f64 v[110:111], v[12:13], s[26:27]
	v_fma_f64 v[62:63], v[52:53], s[40:41], v[54:55]
	v_fma_f64 v[52:53], v[52:53], s[20:21], v[54:55]
	v_add_f64 v[40:41], v[56:57], v[42:43]
	v_add_f64 v[42:43], v[50:51], v[46:47]
	v_mul_f64 v[46:47], v[60:61], s[30:31]
	v_add_f64 v[60:61], v[246:247], -v[216:217]
	v_mul_f64 v[50:51], v[76:77], s[18:19]
	v_add_f64 v[76:77], v[144:145], v[224:225]
	v_add_f64 v[48:49], v[62:63], v[48:49]
	;; [unrolled: 1-line block ×3, first 2 shown]
	v_fma_f64 v[34:35], v[74:75], s[16:17], -v[112:113]
	v_fma_f64 v[36:37], v[58:59], s[20:21], v[114:115]
	v_fma_f64 v[54:55], v[74:75], s[18:19], v[46:47]
	v_add_f64 v[64:65], v[52:53], v[32:33]
	v_fma_f64 v[66:67], v[74:75], s[18:19], -v[46:47]
	v_add_f64 v[46:47], v[244:245], -v[214:215]
	v_mul_f64 v[52:53], v[60:61], s[34:35]
	buffer_store_dword v52, off, s[48:51], 0 offset:900 ; 4-byte Folded Spill
	buffer_store_dword v53, off, s[48:51], 0 offset:904 ; 4-byte Folded Spill
	v_add_f64 v[32:33], v[34:35], v[38:39]
	v_add_f64 v[34:35], v[36:37], v[40:41]
	;; [unrolled: 1-line block ×3, first 2 shown]
	v_mul_f64 v[54:55], v[46:47], s[34:35]
	buffer_store_dword v54, off, s[48:51], 0 offset:908 ; 4-byte Folded Spill
	buffer_store_dword v55, off, s[48:51], 0 offset:912 ; 4-byte Folded Spill
	v_fma_f64 v[56:57], v[58:59], s[24:25], v[50:51]
	v_fma_f64 v[68:69], v[58:59], s[30:31], v[50:51]
	v_add_f64 v[40:41], v[244:245], v[214:215]
	v_add_f64 v[42:43], v[246:247], v[216:217]
	ds_write_b128 v84, v[20:23] offset:32
	v_mul_f64 v[74:75], v[188:189], s[24:25]
	ds_write_b128 v84, v[8:11] offset:176
	ds_write_b128 v84, v[0:3] offset:192
	;; [unrolled: 1-line block ×8, first 2 shown]
	v_add_f64 v[28:29], v[146:147], v[230:231]
	v_mul_f64 v[26:27], v[194:195], s[22:23]
	v_add_f64 v[16:17], v[146:147], -v[230:231]
	v_add_f64 v[34:35], v[148:149], v[232:233]
	v_add_f64 v[24:25], v[134:135], v[138:139]
	v_add_f64 v[18:19], v[134:135], -v[138:139]
	v_add_f64 v[30:31], v[136:137], v[140:141]
	v_mul_f64 v[98:99], v[60:61], s[28:29]
	v_add_f64 v[38:39], v[56:57], v[48:49]
	v_add_f64 v[48:49], v[66:67], v[62:63]
	v_add_f64 v[50:51], v[68:69], v[64:65]
	v_add_f64 v[62:63], v[154:155], v[218:219]
	v_mul_f64 v[64:65], v[184:185], s[28:29]
	v_add_f64 v[66:67], v[156:157], v[220:221]
	v_mul_f64 v[68:69], v[186:187], s[28:29]
	v_mul_f64 v[114:115], v[184:185], s[20:21]
	;; [unrolled: 1-line block ×9, first 2 shown]
	v_fma_f64 v[0:1], v[28:29], s[14:15], v[26:27]
	v_mul_f64 v[78:79], v[16:17], s[22:23]
	v_mul_f64 v[118:119], v[16:17], s[28:29]
	;; [unrolled: 1-line block ×6, first 2 shown]
	ds_write_b128 v84, v[36:39] offset:96
	v_add_f64 v[36:37], v[150:151], v[226:227]
	v_mul_f64 v[38:39], v[190:191], s[20:21]
	ds_write_b128 v84, v[48:51] offset:112
	v_fma_f64 v[14:15], v[62:63], s[12:13], v[64:65]
	v_mul_f64 v[84:85], v[16:17], s[30:31]
	v_fma_f64 v[20:21], v[66:67], s[12:13], -v[68:69]
	v_mul_f64 v[48:49], v[194:195], s[28:29]
	v_mul_f64 v[90:91], v[18:19], s[36:37]
	;; [unrolled: 1-line block ×3, first 2 shown]
	v_fma_f64 v[10:11], v[62:63], s[18:19], v[168:169]
	v_mul_f64 v[180:181], v[46:47], s[22:23]
	v_fma_f64 v[50:51], v[66:67], s[18:19], -v[170:171]
	v_mul_f64 v[60:61], v[60:61], s[26:27]
	v_mul_f64 v[184:185], v[184:185], s[38:39]
	;; [unrolled: 1-line block ×6, first 2 shown]
	v_fma_f64 v[198:199], v[62:63], s[4:5], v[184:185]
	v_fma_f64 v[204:205], v[186:187], s[34:35], v[202:203]
	v_fma_f64 v[184:185], v[62:63], s[4:5], -v[184:185]
	v_fma_f64 v[4:5], v[40:41], s[4:5], v[52:53]
	v_mul_f64 v[52:53], v[192:193], s[20:21]
	v_add_f64 v[4:5], v[240:241], v[4:5]
	v_fma_f64 v[8:9], v[82:83], s[16:17], -v[52:53]
	v_fma_f64 v[6:7], v[42:43], s[4:5], -v[54:55]
	v_add_f64 v[4:5], v[14:15], v[4:5]
	v_fma_f64 v[14:15], v[72:73], s[18:19], v[70:71]
	v_add_f64 v[6:7], v[242:243], v[6:7]
	v_add_f64 v[4:5], v[14:15], v[4:5]
	v_fma_f64 v[14:15], v[36:37], s[16:17], v[38:39]
	v_add_f64 v[6:7], v[20:21], v[6:7]
	v_fma_f64 v[20:21], v[76:77], s[18:19], -v[74:75]
	v_add_f64 v[4:5], v[14:15], v[4:5]
	v_add_f64 v[14:15], v[136:137], -v[140:141]
	v_add_f64 v[6:7], v[20:21], v[6:7]
	v_mul_f64 v[20:21], v[16:17], s[38:39]
	v_add_f64 v[0:1], v[0:1], v[4:5]
	v_fma_f64 v[4:5], v[34:35], s[14:15], -v[78:79]
	v_mul_f64 v[32:33], v[14:15], s[38:39]
	v_add_f64 v[2:3], v[8:9], v[6:7]
	v_mul_f64 v[6:7], v[14:15], s[26:27]
	buffer_store_dword v6, off, s[48:51], 0 offset:916 ; 4-byte Folded Spill
	buffer_store_dword v7, off, s[48:51], 0 offset:920 ; 4-byte Folded Spill
	v_add_f64 v[2:3], v[4:5], v[2:3]
	v_mul_f64 v[54:55], v[14:15], s[22:23]
	v_fma_f64 v[8:9], v[66:67], s[14:15], -v[106:107]
	v_mul_f64 v[88:89], v[14:15], s[36:37]
	v_mul_f64 v[120:121], v[14:15], s[20:21]
	v_fma_f64 v[4:5], v[24:25], s[6:7], v[6:7]
	v_fma_f64 v[6:7], v[62:63], s[14:15], v[94:95]
	v_add_f64 v[248:249], v[4:5], v[0:1]
	v_fma_f64 v[0:1], v[30:31], s[6:7], -v[22:23]
	v_fma_f64 v[4:5], v[66:67], s[16:17], -v[116:117]
	v_add_f64 v[250:251], v[0:1], v[2:3]
	v_fma_f64 v[0:1], v[40:41], s[12:13], v[98:99]
	v_fma_f64 v[2:3], v[62:63], s[16:17], v[114:115]
	v_add_f64 v[0:1], v[240:241], v[0:1]
	v_add_f64 v[0:1], v[2:3], v[0:1]
	v_fma_f64 v[2:3], v[42:43], s[12:13], -v[102:103]
	v_add_f64 v[2:3], v[242:243], v[2:3]
	v_add_f64 v[2:3], v[4:5], v[2:3]
	v_fma_f64 v[4:5], v[72:73], s[6:7], v[110:111]
	v_add_f64 v[0:1], v[4:5], v[0:1]
	v_fma_f64 v[4:5], v[76:77], s[6:7], -v[112:113]
	v_add_f64 v[2:3], v[4:5], v[2:3]
	v_fma_f64 v[4:5], v[36:37], s[14:15], v[86:87]
	v_add_f64 v[0:1], v[4:5], v[0:1]
	v_fma_f64 v[4:5], v[82:83], s[14:15], -v[108:109]
	;; [unrolled: 4-line block ×4, first 2 shown]
	v_fma_f64 v[4:5], v[66:67], s[6:7], -v[238:239]
	v_add_f64 v[254:255], v[0:1], v[2:3]
	v_fma_f64 v[0:1], v[40:41], s[18:19], v[158:159]
	v_fma_f64 v[2:3], v[62:63], s[6:7], v[130:131]
	v_add_f64 v[0:1], v[240:241], v[0:1]
	v_add_f64 v[0:1], v[2:3], v[0:1]
	v_fma_f64 v[2:3], v[42:43], s[18:19], -v[162:163]
	v_add_f64 v[2:3], v[242:243], v[2:3]
	v_add_f64 v[2:3], v[4:5], v[2:3]
	v_fma_f64 v[4:5], v[72:73], s[16:17], v[126:127]
	v_add_f64 v[0:1], v[4:5], v[0:1]
	v_fma_f64 v[4:5], v[76:77], s[16:17], -v[128:129]
	v_add_f64 v[2:3], v[4:5], v[2:3]
	v_fma_f64 v[4:5], v[36:37], s[4:5], v[122:123]
	v_add_f64 v[0:1], v[4:5], v[0:1]
	v_fma_f64 v[4:5], v[82:83], s[4:5], -v[124:125]
	;; [unrolled: 4-line block ×4, first 2 shown]
	v_add_f64 v[2:3], v[4:5], v[2:3]
	v_fma_f64 v[4:5], v[40:41], s[16:17], v[172:173]
	v_add_f64 v[4:5], v[240:241], v[4:5]
	v_add_f64 v[4:5], v[6:7], v[4:5]
	v_fma_f64 v[6:7], v[42:43], s[16:17], -v[176:177]
	v_add_f64 v[6:7], v[242:243], v[6:7]
	v_add_f64 v[6:7], v[8:9], v[6:7]
	v_fma_f64 v[8:9], v[72:73], s[4:5], v[234:235]
	v_add_f64 v[4:5], v[8:9], v[4:5]
	v_fma_f64 v[8:9], v[76:77], s[4:5], -v[236:237]
	v_add_f64 v[6:7], v[8:9], v[6:7]
	v_fma_f64 v[8:9], v[36:37], s[18:19], v[100:101]
	v_add_f64 v[4:5], v[8:9], v[4:5]
	v_fma_f64 v[8:9], v[82:83], s[18:19], -v[104:105]
	v_add_f64 v[6:7], v[8:9], v[6:7]
	v_fma_f64 v[8:9], v[28:29], s[6:7], v[132:133]
	v_add_f64 v[4:5], v[8:9], v[4:5]
	v_fma_f64 v[8:9], v[34:35], s[6:7], -v[92:93]
	v_add_f64 v[6:7], v[8:9], v[6:7]
	v_fma_f64 v[8:9], v[24:25], s[12:13], v[88:89]
	v_add_f64 v[4:5], v[8:9], v[4:5]
	v_fma_f64 v[8:9], v[30:31], s[12:13], -v[90:91]
	v_add_f64 v[6:7], v[8:9], v[6:7]
	v_fma_f64 v[8:9], v[40:41], s[14:15], v[178:179]
	v_add_f64 v[8:9], v[240:241], v[8:9]
	v_add_f64 v[8:9], v[10:11], v[8:9]
	v_fma_f64 v[10:11], v[42:43], s[14:15], -v[180:181]
	v_add_f64 v[10:11], v[242:243], v[10:11]
	v_add_f64 v[10:11], v[50:51], v[10:11]
	v_fma_f64 v[50:51], v[72:73], s[12:13], v[166:167]
	v_add_f64 v[8:9], v[50:51], v[8:9]
	v_fma_f64 v[50:51], v[76:77], s[12:13], -v[174:175]
	v_add_f64 v[10:11], v[50:51], v[10:11]
	v_fma_f64 v[50:51], v[36:37], s[6:7], v[160:161]
	v_add_f64 v[8:9], v[50:51], v[8:9]
	v_fma_f64 v[50:51], v[82:83], s[6:7], -v[164:165]
	;; [unrolled: 4-line block ×3, first 2 shown]
	v_add_f64 v[10:11], v[50:51], v[10:11]
	v_fma_f64 v[50:51], v[24:25], s[16:17], v[120:121]
	v_add_f64 v[8:9], v[50:51], v[8:9]
	v_mul_f64 v[50:51], v[18:19], s[20:21]
	v_fma_f64 v[196:197], v[30:31], s[16:17], -v[50:51]
	v_add_f64 v[10:11], v[196:197], v[10:11]
	v_fma_f64 v[196:197], v[40:41], s[6:7], v[60:61]
	v_fma_f64 v[60:61], v[40:41], s[6:7], -v[60:61]
	v_add_f64 v[196:197], v[240:241], v[196:197]
	v_add_f64 v[60:61], v[240:241], v[60:61]
	;; [unrolled: 1-line block ×3, first 2 shown]
	v_mul_f64 v[198:199], v[42:43], s[6:7]
	v_add_f64 v[60:61], v[184:185], v[60:61]
	v_fma_f64 v[184:185], v[186:187], s[38:39], v[202:203]
	v_fma_f64 v[200:201], v[46:47], s[44:45], v[198:199]
	;; [unrolled: 1-line block ×3, first 2 shown]
	v_add_f64 v[200:201], v[242:243], v[200:201]
	v_add_f64 v[46:47], v[242:243], v[46:47]
	;; [unrolled: 1-line block ×3, first 2 shown]
	v_mul_f64 v[204:205], v[12:13], s[22:23]
	v_add_f64 v[46:47], v[184:185], v[46:47]
	v_fma_f64 v[12:13], v[72:73], s[14:15], v[204:205]
	v_fma_f64 v[186:187], v[72:73], s[14:15], -v[204:205]
	v_add_f64 v[12:13], v[12:13], v[196:197]
	v_mul_f64 v[196:197], v[76:77], s[14:15]
	v_add_f64 v[60:61], v[186:187], v[60:61]
	v_fma_f64 v[186:187], v[36:37], s[12:13], -v[190:191]
	v_fma_f64 v[206:207], v[188:189], s[42:43], v[196:197]
	v_fma_f64 v[184:185], v[188:189], s[22:23], v[196:197]
	v_add_f64 v[60:61], v[186:187], v[60:61]
	v_add_f64 v[200:201], v[206:207], v[200:201]
	v_fma_f64 v[206:207], v[36:37], s[12:13], v[190:191]
	v_add_f64 v[46:47], v[184:185], v[46:47]
	v_add_f64 v[12:13], v[206:207], v[12:13]
	v_mul_f64 v[206:207], v[82:83], s[12:13]
	v_fma_f64 v[208:209], v[192:193], s[28:29], v[206:207]
	v_fma_f64 v[184:185], v[192:193], s[36:37], v[206:207]
	v_add_f64 v[200:201], v[208:209], v[200:201]
	v_fma_f64 v[208:209], v[28:29], s[16:17], v[194:195]
	v_add_f64 v[46:47], v[184:185], v[46:47]
	v_fma_f64 v[184:185], v[28:29], s[16:17], -v[194:195]
	v_add_f64 v[12:13], v[208:209], v[12:13]
	v_mul_f64 v[208:209], v[34:35], s[16:17]
	v_add_f64 v[60:61], v[184:185], v[60:61]
	v_fma_f64 v[210:211], v[16:17], s[40:41], v[208:209]
	v_fma_f64 v[16:17], v[16:17], s[20:21], v[208:209]
	v_add_f64 v[200:201], v[210:211], v[200:201]
	v_mul_f64 v[210:211], v[14:15], s[30:31]
	v_add_f64 v[46:47], v[16:17], v[46:47]
	v_fma_f64 v[14:15], v[24:25], s[18:19], v[210:211]
	v_fma_f64 v[16:17], v[24:25], s[18:19], -v[210:211]
	v_add_f64 v[12:13], v[14:15], v[12:13]
	v_fma_f64 v[14:15], v[18:19], s[24:25], v[212:213]
	v_fma_f64 v[18:19], v[18:19], s[30:31], v[212:213]
	v_add_f64 v[16:17], v[16:17], v[60:61]
	v_add_f64 v[14:15], v[14:15], v[200:201]
	;; [unrolled: 1-line block ×3, first 2 shown]
	s_and_saveexec_b32 s1, vcc_lo
	s_cbranch_execz .LBB0_17
; %bb.16:
	v_mul_f64 v[184:185], v[42:43], s[14:15]
	v_add_f64 v[60:61], v[240:241], v[244:245]
	v_add_f64 v[46:47], v[242:243], v[246:247]
	;; [unrolled: 1-line block ×3, first 2 shown]
	v_mul_f64 v[184:185], v[40:41], s[14:15]
	v_add_f64 v[60:61], v[60:61], v[154:155]
	v_add_f64 v[46:47], v[46:47], v[156:157]
	v_add_f64 v[180:181], v[242:243], v[180:181]
	v_add_f64 v[178:179], v[184:185], -v[178:179]
	v_mul_f64 v[184:185], v[42:43], s[16:17]
	v_add_f64 v[60:61], v[60:61], v[142:143]
	v_add_f64 v[46:47], v[46:47], v[144:145]
	v_add_f64 v[178:179], v[240:241], v[178:179]
	v_add_f64 v[176:177], v[176:177], v[184:185]
	v_mul_f64 v[184:185], v[40:41], s[16:17]
	v_add_f64 v[60:61], v[60:61], v[150:151]
	v_add_f64 v[46:47], v[46:47], v[152:153]
	;; [unrolled: 1-line block ×3, first 2 shown]
	v_add_f64 v[172:173], v[184:185], -v[172:173]
	v_mul_f64 v[184:185], v[42:43], s[18:19]
	v_add_f64 v[60:61], v[60:61], v[146:147]
	v_add_f64 v[46:47], v[46:47], v[148:149]
	v_mul_f64 v[148:149], v[72:73], s[4:5]
	v_add_f64 v[172:173], v[240:241], v[172:173]
	v_add_f64 v[162:163], v[162:163], v[184:185]
	v_mul_f64 v[184:185], v[40:41], s[18:19]
	v_add_f64 v[60:61], v[60:61], v[134:135]
	v_add_f64 v[146:147], v[148:149], -v[234:235]
	v_mul_f64 v[148:149], v[76:77], s[16:17]
	v_add_f64 v[46:47], v[46:47], v[136:137]
	v_add_f64 v[162:163], v[242:243], v[162:163]
	v_add_f64 v[158:159], v[184:185], -v[158:159]
	v_mul_f64 v[184:185], v[42:43], s[12:13]
	v_add_f64 v[60:61], v[60:61], v[138:139]
	v_add_f64 v[128:129], v[128:129], v[148:149]
	v_mul_f64 v[148:149], v[72:73], s[16:17]
	v_add_f64 v[46:47], v[46:47], v[140:141]
	v_mul_f64 v[42:43], v[42:43], s[4:5]
	v_add_f64 v[158:159], v[240:241], v[158:159]
	v_add_f64 v[142:143], v[102:103], v[184:185]
	v_mul_f64 v[184:185], v[40:41], s[12:13]
	v_mul_f64 v[40:41], v[40:41], s[4:5]
	v_add_f64 v[126:127], v[148:149], -v[126:127]
	v_mul_f64 v[148:149], v[76:77], s[6:7]
	v_add_f64 v[46:47], v[46:47], v[232:233]
	v_add_f64 v[60:61], v[60:61], v[230:231]
	;; [unrolled: 1-line block ×3, first 2 shown]
	v_add_f64 v[138:139], v[184:185], -v[98:99]
	s_clause 0x1
	buffer_load_dword v98, off, s[48:51], 0 offset:908
	buffer_load_dword v99, off, s[48:51], 0 offset:912
	v_mul_f64 v[184:185], v[76:77], s[12:13]
	v_add_f64 v[112:113], v[112:113], v[148:149]
	v_mul_f64 v[148:149], v[72:73], s[6:7]
	v_add_f64 v[46:47], v[46:47], v[228:229]
	v_add_f64 v[60:61], v[60:61], v[226:227]
	;; [unrolled: 1-line block ×4, first 2 shown]
	v_mul_f64 v[184:185], v[66:67], s[18:19]
	v_add_f64 v[110:111], v[148:149], -v[110:111]
	v_mul_f64 v[148:149], v[82:83], s[18:19]
	v_add_f64 v[46:47], v[46:47], v[224:225]
	v_add_f64 v[60:61], v[60:61], v[222:223]
	v_add_f64 v[170:171], v[170:171], v[184:185]
	v_mul_f64 v[184:185], v[62:63], s[18:19]
	v_add_f64 v[144:145], v[104:105], v[148:149]
	v_mul_f64 v[148:149], v[36:37], s[18:19]
	v_add_f64 v[46:47], v[46:47], v[220:221]
	v_add_f64 v[60:61], v[60:61], v[218:219]
	v_add_f64 v[168:169], v[184:185], -v[168:169]
	v_mul_f64 v[184:185], v[66:67], s[14:15]
	v_add_f64 v[140:141], v[148:149], -v[100:101]
	v_mul_f64 v[148:149], v[82:83], s[4:5]
	v_add_f64 v[152:153], v[168:169], v[178:179]
	v_add_f64 v[154:155], v[106:107], v[184:185]
	v_mul_f64 v[184:185], v[62:63], s[14:15]
	v_add_f64 v[124:125], v[124:125], v[148:149]
	v_mul_f64 v[148:149], v[36:37], s[4:5]
	v_add_f64 v[154:155], v[154:155], v[176:177]
	v_add_f64 v[150:151], v[184:185], -v[94:95]
	v_mul_f64 v[184:185], v[66:67], s[6:7]
	v_add_f64 v[122:123], v[148:149], -v[122:123]
	v_mul_f64 v[148:149], v[82:83], s[14:15]
	v_add_f64 v[150:151], v[150:151], v[172:173]
	v_add_f64 v[134:135], v[238:239], v[184:185]
	v_mul_f64 v[184:185], v[62:63], s[6:7]
	v_add_f64 v[108:109], v[108:109], v[148:149]
	v_mul_f64 v[148:149], v[36:37], s[14:15]
	v_add_f64 v[134:135], v[134:135], v[162:163]
	v_add_f64 v[130:131], v[184:185], -v[130:131]
	v_mul_f64 v[184:185], v[66:67], s[16:17]
	v_mul_f64 v[66:67], v[66:67], s[12:13]
	v_add_f64 v[86:87], v[148:149], -v[86:87]
	v_mul_f64 v[148:149], v[34:35], s[6:7]
	v_add_f64 v[130:131], v[130:131], v[158:159]
	v_add_f64 v[116:117], v[116:117], v[184:185]
	;; [unrolled: 1-line block ×3, first 2 shown]
	v_mul_f64 v[68:69], v[76:77], s[4:5]
	v_mul_f64 v[76:77], v[76:77], s[18:19]
	v_add_f64 v[136:137], v[92:93], v[148:149]
	v_mul_f64 v[148:149], v[28:29], s[6:7]
	v_mul_f64 v[184:185], v[62:63], s[16:17]
	v_mul_f64 v[62:63], v[62:63], s[12:13]
	v_add_f64 v[126:127], v[126:127], v[130:131]
	v_add_f64 v[116:117], v[116:117], v[142:143]
	;; [unrolled: 1-line block ×4, first 2 shown]
	v_mul_f64 v[76:77], v[36:37], s[6:7]
	v_mul_f64 v[36:37], v[36:37], s[16:17]
	v_add_f64 v[132:133], v[148:149], -v[132:133]
	v_mul_f64 v[148:149], v[34:35], s[12:13]
	v_add_f64 v[114:115], v[184:185], -v[114:115]
	v_add_f64 v[62:63], v[62:63], -v[64:65]
	v_mul_f64 v[64:65], v[72:73], s[12:13]
	v_mul_f64 v[72:73], v[72:73], s[18:19]
	v_add_f64 v[112:113], v[112:113], v[116:117]
	v_add_f64 v[76:77], v[76:77], -v[160:161]
	v_add_f64 v[36:37], v[36:37], -v[38:39]
	v_mul_f64 v[38:39], v[34:35], s[4:5]
	v_add_f64 v[118:119], v[118:119], v[148:149]
	v_mul_f64 v[148:149], v[28:29], s[12:13]
	v_add_f64 v[114:115], v[114:115], v[138:139]
	v_add_f64 v[64:65], v[64:65], -v[166:167]
	v_add_f64 v[70:71], v[72:73], -v[70:71]
	v_mul_f64 v[72:73], v[82:83], s[6:7]
	v_mul_f64 v[82:83], v[82:83], s[16:17]
	v_add_f64 v[108:109], v[108:109], v[112:113]
	v_mul_f64 v[112:113], v[24:25], s[12:13]
	v_add_f64 v[38:39], v[20:21], v[38:39]
	v_add_f64 v[48:49], v[148:149], -v[48:49]
	v_mul_f64 v[148:149], v[34:35], s[18:19]
	v_mul_f64 v[34:35], v[34:35], s[14:15]
	v_add_f64 v[64:65], v[64:65], v[152:153]
	v_add_f64 v[72:73], v[164:165], v[72:73]
	;; [unrolled: 1-line block ×3, first 2 shown]
	v_mul_f64 v[82:83], v[28:29], s[4:5]
	v_add_f64 v[110:111], v[110:111], v[114:115]
	v_mul_f64 v[114:115], v[30:31], s[14:15]
	v_add_f64 v[84:85], v[84:85], v[148:149]
	v_mul_f64 v[148:149], v[28:29], s[18:19]
	v_mul_f64 v[28:29], v[28:29], s[14:15]
	v_add_f64 v[34:35], v[78:79], v[34:35]
	v_add_f64 v[78:79], v[128:129], v[134:135]
	v_add_f64 v[82:83], v[82:83], -v[96:97]
	v_add_f64 v[86:87], v[86:87], v[110:111]
	v_mul_f64 v[110:111], v[24:25], s[14:15]
	v_add_f64 v[56:57], v[56:57], v[114:115]
	v_add_f64 v[58:59], v[148:149], -v[58:59]
	v_add_f64 v[148:149], v[170:171], v[180:181]
	v_add_f64 v[26:27], v[28:29], -v[26:27]
	v_add_f64 v[54:55], v[110:111], -v[54:55]
	s_waitcnt vmcnt(0)
	v_add_f64 v[42:43], v[98:99], v[42:43]
	s_clause 0x3
	buffer_load_dword v98, off, s[48:51], 0 offset:900
	buffer_load_dword v99, off, s[48:51], 0 offset:904
	;; [unrolled: 1-line block ×4, first 2 shown]
	v_add_f64 v[58:59], v[58:59], v[86:87]
	v_add_f64 v[42:43], v[242:243], v[42:43]
	;; [unrolled: 1-line block ×11, first 2 shown]
	v_mul_f64 v[52:53], v[24:25], s[4:5]
	v_add_f64 v[48:49], v[48:49], v[78:79]
	v_add_f64 v[42:43], v[34:35], v[42:43]
	v_add_f64 v[32:33], v[52:53], -v[32:33]
	v_add_f64 v[32:33], v[32:33], v[58:59]
	s_waitcnt vmcnt(2)
	v_add_f64 v[40:41], v[40:41], -v[98:99]
	v_add_f64 v[40:41], v[240:241], v[40:41]
	v_add_f64 v[40:41], v[62:63], v[40:41]
	;; [unrolled: 1-line block ×6, first 2 shown]
	v_mul_f64 v[64:65], v[30:31], s[16:17]
	v_mul_f64 v[70:71], v[24:25], s[16:17]
	v_mul_f64 v[72:73], v[30:31], s[12:13]
	v_mul_f64 v[76:77], v[30:31], s[4:5]
	v_mul_f64 v[30:31], v[30:31], s[6:7]
	v_mul_f64 v[24:25], v[24:25], s[6:7]
	v_add_f64 v[28:29], v[36:37], v[28:29]
	v_add_f64 v[36:37], v[50:51], v[64:65]
	v_add_f64 v[50:51], v[70:71], -v[120:121]
	v_add_f64 v[64:65], v[90:91], v[72:73]
	v_add_f64 v[70:71], v[112:113], -v[88:89]
	v_add_f64 v[72:73], v[80:81], v[76:77]
	v_add_f64 v[52:53], v[22:23], v[30:31]
	s_waitcnt vmcnt(0)
	v_add_f64 v[76:77], v[24:25], -v[20:21]
	v_add_f64 v[20:21], v[38:39], v[40:41]
	v_add_f64 v[24:25], v[82:83], v[62:63]
	;; [unrolled: 1-line block ×13, first 2 shown]
	s_clause 0x1
	buffer_load_dword v46, off, s[48:51], 0
	buffer_load_dword v47, off, s[48:51], 0 offset:888
	v_add_f64 v[26:27], v[64:65], v[30:31]
	v_add_f64 v[30:31], v[56:57], v[40:41]
	;; [unrolled: 1-line block ×5, first 2 shown]
	s_waitcnt vmcnt(0)
	v_lshl_add_u32 v46, v47, 4, v46
	ds_write_b128 v46, v[248:251] offset:16
	ds_write_b128 v46, v[252:255] offset:32
	;; [unrolled: 1-line block ×11, first 2 shown]
	ds_write_b128 v46, v[40:43]
	ds_write_b128 v46, v[36:39] offset:192
.LBB0_17:
	s_or_b32 exec_lo, exec_lo, s1
	s_waitcnt lgkmcnt(0)
	s_waitcnt_vscnt null, 0x0
	s_barrier
	buffer_gl0_inv
	ds_read_b128 v[24:27], v182
	ds_read_b128 v[20:23], v182 offset:1456
	ds_read_b128 v[224:227], v182 offset:3120
	;; [unrolled: 1-line block ×13, first 2 shown]
	s_and_saveexec_b32 s1, s0
	s_cbranch_execz .LBB0_19
; %bb.18:
	ds_read_b128 v[248:251], v182 offset:2912
	ds_read_b128 v[252:255], v182 offset:6032
	;; [unrolled: 1-line block ×7, first 2 shown]
.LBB0_19:
	s_or_b32 exec_lo, exec_lo, s1
	s_clause 0x3
	buffer_load_dword v48, off, s[48:51], 0 offset:424
	buffer_load_dword v49, off, s[48:51], 0 offset:428
	;; [unrolled: 1-line block ×4, first 2 shown]
	s_mov_b32 s4, 0x37e14327
	s_mov_b32 s6, 0x36b3c0b5
	;; [unrolled: 1-line block ×20, first 2 shown]
	v_add_nc_u32_e32 v76, 0xb60, v182
	v_add_nc_u32_e32 v75, 0x1110, v182
	;; [unrolled: 1-line block ×3, first 2 shown]
	s_waitcnt vmcnt(0) lgkmcnt(11)
	v_mul_f64 v[46:47], v[50:51], v[226:227]
	v_fma_f64 v[77:78], v[48:49], v[224:225], v[46:47]
	v_mul_f64 v[46:47], v[50:51], v[224:225]
	v_fma_f64 v[79:80], v[48:49], v[226:227], -v[46:47]
	s_clause 0x3
	buffer_load_dword v48, off, s[48:51], 0 offset:408
	buffer_load_dword v49, off, s[48:51], 0 offset:412
	buffer_load_dword v50, off, s[48:51], 0 offset:416
	buffer_load_dword v51, off, s[48:51], 0 offset:420
	s_waitcnt vmcnt(0) lgkmcnt(9)
	v_mul_f64 v[46:47], v[50:51], v[222:223]
	v_fma_f64 v[81:82], v[48:49], v[220:221], v[46:47]
	v_mul_f64 v[46:47], v[50:51], v[220:221]
	v_fma_f64 v[112:113], v[48:49], v[222:223], -v[46:47]
	s_clause 0x3
	buffer_load_dword v48, off, s[48:51], 0 offset:392
	buffer_load_dword v49, off, s[48:51], 0 offset:396
	buffer_load_dword v50, off, s[48:51], 0 offset:400
	buffer_load_dword v51, off, s[48:51], 0 offset:404
	;; [unrolled: 10-line block ×5, first 2 shown]
	buffer_load_dword v60, off, s[48:51], 0 offset:556
	buffer_load_dword v61, off, s[48:51], 0 offset:560
	;; [unrolled: 1-line block ×4, first 2 shown]
	s_waitcnt vmcnt(4) lgkmcnt(1)
	v_mul_f64 v[46:47], v[50:51], v[86:87]
	v_fma_f64 v[90:91], v[48:49], v[84:85], v[46:47]
	v_mul_f64 v[46:47], v[50:51], v[84:85]
	v_fma_f64 v[83:84], v[48:49], v[86:87], -v[46:47]
	s_waitcnt vmcnt(0)
	v_mul_f64 v[46:47], v[62:63], v[58:59]
	v_mul_f64 v[48:49], v[62:63], v[56:57]
	v_fma_f64 v[46:47], v[60:61], v[56:57], v[46:47]
	v_fma_f64 v[48:49], v[60:61], v[58:59], -v[48:49]
	s_clause 0x3
	buffer_load_dword v56, off, s[48:51], 0 offset:508
	buffer_load_dword v57, off, s[48:51], 0 offset:512
	;; [unrolled: 1-line block ×4, first 2 shown]
	s_waitcnt vmcnt(0)
	v_mul_f64 v[50:51], v[58:59], v[54:55]
	v_fma_f64 v[60:61], v[56:57], v[52:53], v[50:51]
	v_mul_f64 v[50:51], v[58:59], v[52:53]
	v_add_f64 v[58:59], v[108:109], -v[116:117]
	v_fma_f64 v[50:51], v[56:57], v[54:55], -v[50:51]
	s_clause 0x3
	buffer_load_dword v54, off, s[48:51], 0 offset:492
	buffer_load_dword v55, off, s[48:51], 0 offset:496
	;; [unrolled: 1-line block ×4, first 2 shown]
	s_waitcnt vmcnt(0)
	v_mul_f64 v[52:53], v[56:57], v[42:43]
	v_fma_f64 v[62:63], v[54:55], v[40:41], v[52:53]
	v_mul_f64 v[40:41], v[56:57], v[40:41]
	v_add_f64 v[56:57], v[118:119], -v[114:115]
	v_fma_f64 v[64:65], v[54:55], v[42:43], -v[40:41]
	s_clause 0x3
	buffer_load_dword v52, off, s[48:51], 0 offset:476
	buffer_load_dword v53, off, s[48:51], 0 offset:480
	;; [unrolled: 1-line block ×4, first 2 shown]
	v_add_f64 v[42:43], v[112:113], -v[88:89]
	s_waitcnt vmcnt(0)
	v_mul_f64 v[40:41], v[54:55], v[38:39]
	v_fma_f64 v[66:67], v[52:53], v[36:37], v[40:41]
	v_mul_f64 v[36:37], v[54:55], v[36:37]
	v_add_f64 v[54:55], v[116:117], v[108:109]
	v_fma_f64 v[68:69], v[52:53], v[38:39], -v[36:37]
	s_clause 0x3
	buffer_load_dword v38, off, s[48:51], 0 offset:460
	buffer_load_dword v39, off, s[48:51], 0 offset:464
	;; [unrolled: 1-line block ×4, first 2 shown]
	v_add_f64 v[52:53], v[114:115], v[118:119]
	s_waitcnt vmcnt(0)
	v_mul_f64 v[36:37], v[40:41], v[34:35]
	v_fma_f64 v[70:71], v[38:39], v[32:33], v[36:37]
	v_mul_f64 v[32:33], v[40:41], v[32:33]
	v_add_f64 v[40:41], v[81:82], -v[110:111]
	v_fma_f64 v[72:73], v[38:39], v[34:35], -v[32:33]
	s_clause 0x3
	buffer_load_dword v34, off, s[48:51], 0 offset:444
	buffer_load_dword v35, off, s[48:51], 0 offset:448
	;; [unrolled: 1-line block ×4, first 2 shown]
	s_waitcnt vmcnt(0) lgkmcnt(0)
	s_barrier
	buffer_gl0_inv
	buffer_load_dword v234, off, s[48:51], 0 offset:724 ; 4-byte Folded Reload
	v_add_f64 v[38:39], v[112:113], v[88:89]
	v_add_f64 v[87:88], v[56:57], v[40:41]
	v_add_f64 v[108:109], v[56:57], -v[40:41]
	v_mul_f64 v[32:33], v[36:37], v[30:31]
	v_fma_f64 v[85:86], v[34:35], v[28:29], v[32:33]
	v_mul_f64 v[28:29], v[36:37], v[28:29]
	v_add_f64 v[36:37], v[81:82], v[110:111]
	v_add_f64 v[32:33], v[77:78], -v[90:91]
	v_add_f64 v[110:111], v[58:59], -v[42:43]
	v_fma_f64 v[120:121], v[34:35], v[30:31], -v[28:29]
	v_add_f64 v[28:29], v[77:78], v[90:91]
	v_add_f64 v[30:31], v[79:80], v[83:84]
	v_add_f64 v[34:35], v[79:80], -v[83:84]
	v_add_f64 v[89:90], v[58:59], v[42:43]
	v_add_f64 v[40:41], v[40:41], -v[32:33]
	v_add_f64 v[56:57], v[32:33], -v[56:57]
	v_add_f64 v[32:33], v[87:88], v[32:33]
	v_mul_f64 v[87:88], v[108:109], s[16:17]
	v_add_f64 v[77:78], v[36:37], v[28:29]
	v_add_f64 v[79:80], v[38:39], v[30:31]
	v_add_f64 v[81:82], v[36:37], -v[28:29]
	v_add_f64 v[83:84], v[38:39], -v[30:31]
	;; [unrolled: 1-line block ×8, first 2 shown]
	v_add_f64 v[34:35], v[89:90], v[34:35]
	v_mul_f64 v[89:90], v[110:111], s[16:17]
	v_mul_f64 v[108:109], v[40:41], s[12:13]
	v_fma_f64 v[40:41], v[40:41], s[12:13], -v[87:88]
	v_add_f64 v[52:53], v[52:53], v[77:78]
	v_add_f64 v[54:55], v[54:55], v[79:80]
	v_mul_f64 v[28:29], v[28:29], s[4:5]
	v_mul_f64 v[30:31], v[30:31], s[4:5]
	;; [unrolled: 1-line block ×5, first 2 shown]
	v_fma_f64 v[42:43], v[42:43], s[12:13], -v[89:90]
	v_add_f64 v[24:25], v[24:25], v[52:53]
	v_add_f64 v[26:27], v[26:27], v[54:55]
	v_fma_f64 v[36:37], v[36:37], s[6:7], v[28:29]
	v_fma_f64 v[38:39], v[38:39], s[6:7], v[30:31]
	v_fma_f64 v[77:78], v[81:82], s[18:19], -v[77:78]
	v_fma_f64 v[79:80], v[83:84], s[18:19], -v[79:80]
	;; [unrolled: 1-line block ×4, first 2 shown]
	v_fma_f64 v[81:82], v[56:57], s[24:25], v[87:88]
	v_fma_f64 v[83:84], v[58:59], s[24:25], v[89:90]
	v_fma_f64 v[56:57], v[56:57], s[26:27], -v[108:109]
	v_fma_f64 v[58:59], v[58:59], s[26:27], -v[110:111]
	v_fma_f64 v[52:53], v[52:53], s[14:15], v[24:25]
	v_fma_f64 v[54:55], v[54:55], s[14:15], v[26:27]
	;; [unrolled: 1-line block ×3, first 2 shown]
	v_add_f64 v[87:88], v[36:37], v[52:53]
	v_add_f64 v[89:90], v[38:39], v[54:55]
	;; [unrolled: 1-line block ×4, first 2 shown]
	v_fma_f64 v[77:78], v[32:33], s[22:23], v[81:82]
	v_fma_f64 v[79:80], v[34:35], s[22:23], v[83:84]
	v_add_f64 v[28:29], v[28:29], v[52:53]
	v_add_f64 v[30:31], v[30:31], v[54:55]
	v_fma_f64 v[81:82], v[32:33], s[22:23], v[40:41]
	v_fma_f64 v[32:33], v[34:35], s[22:23], v[58:59]
	;; [unrolled: 1-line block ×3, first 2 shown]
	v_add_f64 v[58:59], v[89:90], -v[77:78]
	v_add_f64 v[56:57], v[79:80], v[87:88]
	v_add_f64 v[54:55], v[30:31], -v[108:109]
	v_add_f64 v[42:43], v[81:82], v[38:39]
	v_add_f64 v[52:53], v[32:33], v[28:29]
	v_add_f64 v[40:41], v[36:37], -v[83:84]
	v_add_f64 v[36:37], v[83:84], v[36:37]
	v_add_f64 v[38:39], v[38:39], -v[81:82]
	v_add_f64 v[32:33], v[28:29], -v[32:33]
	v_add_f64 v[34:35], v[108:109], v[30:31]
	v_add_f64 v[28:29], v[87:88], -v[79:80]
	v_add_f64 v[30:31], v[77:78], v[89:90]
	s_waitcnt vmcnt(0)
	ds_write_b128 v234, v[24:27]
	ds_write_b128 v234, v[56:59] offset:208
	ds_write_b128 v234, v[52:55] offset:416
	;; [unrolled: 1-line block ×6, first 2 shown]
	buffer_load_dword v235, off, s[48:51], 0 offset:720 ; 4-byte Folded Reload
	v_add_f64 v[77:78], v[46:47], v[85:86]
	v_add_f64 v[79:80], v[48:49], v[120:121]
	;; [unrolled: 1-line block ×4, first 2 shown]
	v_add_f64 v[60:61], v[60:61], -v[70:71]
	v_add_f64 v[50:51], v[50:51], -v[72:73]
	v_add_f64 v[70:71], v[62:63], v[66:67]
	v_add_f64 v[72:73], v[64:65], v[68:69]
	v_add_f64 v[62:63], v[66:67], -v[62:63]
	v_add_f64 v[64:65], v[68:69], -v[64:65]
	;; [unrolled: 1-line block ×4, first 2 shown]
	v_add_f64 v[66:67], v[81:82], v[77:78]
	v_add_f64 v[68:69], v[83:84], v[79:80]
	v_add_f64 v[85:86], v[81:82], -v[77:78]
	v_add_f64 v[87:88], v[83:84], -v[79:80]
	;; [unrolled: 1-line block ×6, first 2 shown]
	v_add_f64 v[89:90], v[62:63], v[60:61]
	v_add_f64 v[108:109], v[64:65], v[50:51]
	v_add_f64 v[110:111], v[62:63], -v[60:61]
	v_add_f64 v[112:113], v[64:65], -v[50:51]
	;; [unrolled: 1-line block ×6, first 2 shown]
	v_add_f64 v[66:67], v[70:71], v[66:67]
	v_add_f64 v[68:69], v[72:73], v[68:69]
	v_mul_f64 v[70:71], v[77:78], s[4:5]
	v_mul_f64 v[72:73], v[79:80], s[4:5]
	;; [unrolled: 1-line block ×4, first 2 shown]
	v_add_f64 v[46:47], v[89:90], v[46:47]
	v_add_f64 v[48:49], v[108:109], v[48:49]
	v_mul_f64 v[89:90], v[110:111], s[16:17]
	v_mul_f64 v[108:109], v[112:113], s[16:17]
	;; [unrolled: 1-line block ×4, first 2 shown]
	v_add_f64 v[20:21], v[20:21], v[66:67]
	v_add_f64 v[22:23], v[22:23], v[68:69]
	v_fma_f64 v[81:82], v[81:82], s[6:7], v[70:71]
	v_fma_f64 v[83:84], v[83:84], s[6:7], v[72:73]
	v_fma_f64 v[77:78], v[85:86], s[18:19], -v[77:78]
	v_fma_f64 v[79:80], v[87:88], s[18:19], -v[79:80]
	;; [unrolled: 1-line block ×4, first 2 shown]
	v_fma_f64 v[85:86], v[62:63], s[24:25], v[89:90]
	v_fma_f64 v[87:88], v[64:65], s[24:25], v[108:109]
	v_fma_f64 v[62:63], v[62:63], s[26:27], -v[110:111]
	v_fma_f64 v[64:65], v[64:65], s[26:27], -v[112:113]
	;; [unrolled: 1-line block ×4, first 2 shown]
	v_fma_f64 v[66:67], v[66:67], s[14:15], v[20:21]
	v_fma_f64 v[68:69], v[68:69], s[14:15], v[22:23]
	v_fma_f64 v[85:86], v[46:47], s[22:23], v[85:86]
	v_fma_f64 v[87:88], v[48:49], s[22:23], v[87:88]
	v_fma_f64 v[108:109], v[46:47], s[22:23], v[62:63]
	v_fma_f64 v[110:111], v[48:49], s[22:23], v[64:65]
	v_fma_f64 v[50:51], v[48:49], s[22:23], v[50:51]
	v_add_f64 v[81:82], v[81:82], v[66:67]
	v_add_f64 v[83:84], v[83:84], v[68:69]
	;; [unrolled: 1-line block ×6, first 2 shown]
	v_fma_f64 v[70:71], v[46:47], s[22:23], v[60:61]
	v_add_f64 v[46:47], v[87:88], v[81:82]
	v_add_f64 v[48:49], v[83:84], -v[85:86]
	v_add_f64 v[60:61], v[110:111], v[89:90]
	v_add_f64 v[62:63], v[72:73], -v[108:109]
	v_add_f64 v[64:65], v[77:78], -v[50:51]
	v_add_f64 v[68:69], v[50:51], v[77:78]
	v_add_f64 v[66:67], v[70:71], v[79:80]
	v_add_f64 v[70:71], v[79:80], -v[70:71]
	v_add_f64 v[77:78], v[89:90], -v[110:111]
	v_add_f64 v[79:80], v[108:109], v[72:73]
	v_add_f64 v[81:82], v[81:82], -v[87:88]
	v_add_f64 v[83:84], v[85:86], v[83:84]
	s_waitcnt vmcnt(0)
	ds_write_b128 v235, v[20:23]
	ds_write_b128 v235, v[46:49] offset:208
	ds_write_b128 v235, v[60:63] offset:416
	;; [unrolled: 1-line block ×6, first 2 shown]
	s_mov_b32 s1, exec_lo
	buffer_load_dword v50, off, s[48:51], 0 ; 4-byte Folded Reload
	s_and_b32 s0, s1, s0
	s_mov_b32 exec_lo, s0
	s_cbranch_execz .LBB0_21
; %bb.20:
	s_clause 0x13
	buffer_load_dword v65, off, s[48:51], 0 offset:872
	buffer_load_dword v66, off, s[48:51], 0 offset:876
	;; [unrolled: 1-line block ×20, first 2 shown]
	s_waitcnt vmcnt(16)
	v_mul_f64 v[20:21], v[67:68], v[16:17]
	s_waitcnt vmcnt(12)
	v_mul_f64 v[22:23], v[48:49], v[252:253]
	;; [unrolled: 2-line block ×4, first 2 shown]
	v_mul_f64 v[32:33], v[53:54], v[2:3]
	s_clause 0x3
	buffer_load_dword v53, off, s[48:51], 0 offset:824
	buffer_load_dword v54, off, s[48:51], 0 offset:828
	;; [unrolled: 1-line block ×4, first 2 shown]
	v_mul_f64 v[28:29], v[48:49], v[254:255]
	v_mul_f64 v[30:31], v[67:68], v[18:19]
	;; [unrolled: 1-line block ×3, first 2 shown]
	s_waitcnt vmcnt(4)
	v_mul_f64 v[36:37], v[59:60], v[10:11]
	v_mul_f64 v[42:43], v[59:60], v[8:9]
	v_fma_f64 v[18:19], v[65:66], v[18:19], -v[20:21]
	v_fma_f64 v[20:21], v[46:47], v[254:255], -v[22:23]
	;; [unrolled: 1-line block ×4, first 2 shown]
	v_fma_f64 v[0:1], v[51:52], v[0:1], v[32:33]
	v_fma_f64 v[22:23], v[46:47], v[252:253], v[28:29]
	;; [unrolled: 1-line block ×5, first 2 shown]
	v_fma_f64 v[10:11], v[57:58], v[10:11], -v[42:43]
	v_add_f64 v[24:25], v[20:21], v[18:19]
	v_add_f64 v[26:27], v[2:3], v[14:15]
	v_add_f64 v[2:3], v[2:3], -v[14:15]
	v_add_f64 v[28:29], v[22:23], v[16:17]
	v_add_f64 v[30:31], v[0:1], v[12:13]
	v_add_f64 v[0:1], v[0:1], -v[12:13]
	v_add_f64 v[14:15], v[30:31], v[28:29]
	s_waitcnt vmcnt(0)
	v_mul_f64 v[38:39], v[55:56], v[6:7]
	v_mul_f64 v[40:41], v[55:56], v[4:5]
	v_fma_f64 v[4:5], v[53:54], v[4:5], v[38:39]
	v_fma_f64 v[6:7], v[53:54], v[6:7], -v[40:41]
	v_add_f64 v[32:33], v[8:9], -v[4:5]
	v_add_f64 v[12:13], v[6:7], v[10:11]
	v_add_f64 v[4:5], v[4:5], v[8:9]
	v_add_f64 v[8:9], v[22:23], -v[16:17]
	v_add_f64 v[16:17], v[26:27], v[24:25]
	v_add_f64 v[6:7], v[10:11], -v[6:7]
	v_add_f64 v[10:11], v[20:21], -v[18:19]
	;; [unrolled: 1-line block ×6, first 2 shown]
	v_add_f64 v[16:17], v[12:13], v[16:17]
	v_add_f64 v[12:13], v[12:13], -v[26:27]
	v_add_f64 v[36:37], v[6:7], -v[2:3]
	v_add_f64 v[14:15], v[4:5], v[14:15]
	v_add_f64 v[4:5], v[4:5], -v[30:31]
	v_add_f64 v[38:39], v[2:3], -v[10:11]
	;; [unrolled: 1-line block ×3, first 2 shown]
	v_add_f64 v[32:33], v[32:33], v[0:1]
	v_add_f64 v[42:43], v[6:7], v[2:3]
	v_add_f64 v[24:25], v[26:27], -v[24:25]
	v_add_f64 v[28:29], v[30:31], -v[28:29]
	;; [unrolled: 1-line block ×3, first 2 shown]
	v_mul_f64 v[18:19], v[18:19], s[16:17]
	v_mul_f64 v[20:21], v[20:21], s[4:5]
	;; [unrolled: 1-line block ×4, first 2 shown]
	v_add_f64 v[2:3], v[250:251], v[16:17]
	v_mul_f64 v[26:27], v[12:13], s[6:7]
	v_mul_f64 v[36:37], v[36:37], s[16:17]
	v_add_f64 v[0:1], v[248:249], v[14:15]
	v_mul_f64 v[30:31], v[4:5], s[6:7]
	v_mul_f64 v[48:49], v[38:39], s[12:13]
	v_add_f64 v[8:9], v[32:33], v[8:9]
	v_add_f64 v[10:11], v[42:43], v[10:11]
	v_fma_f64 v[32:33], v[40:41], s[24:25], v[18:19]
	v_fma_f64 v[12:13], v[12:13], s[6:7], v[20:21]
	;; [unrolled: 1-line block ×3, first 2 shown]
	v_fma_f64 v[40:41], v[40:41], s[26:27], -v[46:47]
	v_fma_f64 v[18:19], v[34:35], s[12:13], -v[18:19]
	v_fma_f64 v[16:17], v[16:17], s[14:15], v[2:3]
	v_fma_f64 v[20:21], v[24:25], s[20:21], -v[20:21]
	v_fma_f64 v[24:25], v[24:25], s[18:19], -v[26:27]
	;; [unrolled: 1-line block ×3, first 2 shown]
	v_fma_f64 v[14:15], v[14:15], s[14:15], v[0:1]
	v_fma_f64 v[22:23], v[28:29], s[20:21], -v[22:23]
	v_fma_f64 v[28:29], v[28:29], s[18:19], -v[30:31]
	v_fma_f64 v[26:27], v[6:7], s[24:25], v[36:37]
	v_fma_f64 v[6:7], v[6:7], s[26:27], -v[48:49]
	v_fma_f64 v[30:31], v[8:9], s[22:23], v[32:33]
	v_fma_f64 v[32:33], v[8:9], s[22:23], v[40:41]
	;; [unrolled: 1-line block ×3, first 2 shown]
	v_add_f64 v[12:13], v[12:13], v[16:17]
	v_add_f64 v[20:21], v[20:21], v[16:17]
	;; [unrolled: 1-line block ×3, first 2 shown]
	v_fma_f64 v[34:35], v[10:11], s[22:23], v[34:35]
	v_add_f64 v[4:5], v[4:5], v[14:15]
	v_add_f64 v[40:41], v[22:23], v[14:15]
	;; [unrolled: 1-line block ×3, first 2 shown]
	v_fma_f64 v[36:37], v[10:11], s[22:23], v[26:27]
	v_fma_f64 v[38:39], v[10:11], s[22:23], v[6:7]
	v_add_f64 v[6:7], v[30:31], v[12:13]
	v_add_f64 v[26:27], v[12:13], -v[30:31]
	v_add_f64 v[14:15], v[16:17], -v[8:9]
	v_add_f64 v[18:19], v[8:9], v[16:17]
	v_add_f64 v[10:11], v[32:33], v[20:21]
	v_add_f64 v[22:23], v[20:21], -v[32:33]
	v_add_f64 v[16:17], v[28:29], -v[34:35]
	v_add_f64 v[12:13], v[34:35], v[28:29]
	buffer_load_dword v28, off, s[48:51], 0 offset:440 ; 4-byte Folded Reload
	v_add_f64 v[24:25], v[36:37], v[4:5]
	v_add_f64 v[20:21], v[38:39], v[40:41]
	v_add_f64 v[8:9], v[40:41], -v[38:39]
	v_add_f64 v[4:5], v[4:5], -v[36:37]
	s_waitcnt vmcnt(0)
	v_lshl_add_u32 v28, v28, 4, v50
	ds_write_b128 v28, v[0:3] offset:20384
	ds_write_b128 v28, v[24:27] offset:20592
	;; [unrolled: 1-line block ×7, first 2 shown]
.LBB0_21:
	s_or_b32 exec_lo, exec_lo, s1
	s_waitcnt vmcnt(0) lgkmcnt(0)
	s_barrier
	buffer_gl0_inv
	ds_read_b128 v[0:3], v182 offset:8736
	ds_read_b128 v[4:7], v182 offset:13104
	;; [unrolled: 1-line block ×4, first 2 shown]
	ds_read_b128 v[16:19], v182
	ds_read_b128 v[20:23], v182 offset:1456
	ds_read_b128 v[24:27], v182 offset:10192
	;; [unrolled: 1-line block ×5, first 2 shown]
	s_clause 0x7
	buffer_load_dword v100, off, s[48:51], 0 offset:760
	buffer_load_dword v101, off, s[48:51], 0 offset:764
	;; [unrolled: 1-line block ×8, first 2 shown]
	ds_read_b128 v[40:43], v182 offset:5824
	s_clause 0x7
	buffer_load_dword v104, off, s[48:51], 0 offset:776
	buffer_load_dword v105, off, s[48:51], 0 offset:780
	;; [unrolled: 1-line block ×8, first 2 shown]
	ds_read_b128 v[46:49], v182 offset:7280
	ds_read_b128 v[50:53], v182 offset:14560
	;; [unrolled: 1-line block ×4, first 2 shown]
	s_clause 0xf
	buffer_load_dword v122, off, s[48:51], 0 offset:344
	buffer_load_dword v123, off, s[48:51], 0 offset:348
	;; [unrolled: 1-line block ×16, first 2 shown]
	s_mov_b32 s6, 0x134454ff
	s_mov_b32 s7, 0xbfee6f0e
	;; [unrolled: 1-line block ×10, first 2 shown]
	s_waitcnt vmcnt(0) lgkmcnt(0)
	s_barrier
	buffer_gl0_inv
	v_mul_f64 v[62:63], v[102:103], v[2:3]
	v_mul_f64 v[64:65], v[98:99], v[6:7]
	;; [unrolled: 1-line block ×13, first 2 shown]
	v_fma_f64 v[0:1], v[100:101], v[0:1], v[62:63]
	v_fma_f64 v[4:5], v[96:97], v[4:5], v[64:65]
	v_fma_f64 v[2:3], v[100:101], v[2:3], -v[70:71]
	v_fma_f64 v[8:9], v[104:105], v[8:9], v[66:67]
	v_fma_f64 v[12:13], v[91:92], v[12:13], v[68:69]
	v_fma_f64 v[6:7], v[96:97], v[6:7], -v[72:73]
	v_mul_f64 v[64:65], v[102:103], v[26:27]
	v_mul_f64 v[68:69], v[98:99], v[52:53]
	;; [unrolled: 1-line block ×6, first 2 shown]
	v_fma_f64 v[10:11], v[104:105], v[10:11], -v[77:78]
	v_fma_f64 v[14:15], v[91:92], v[14:15], -v[79:80]
	v_fma_f64 v[40:41], v[104:105], v[40:41], v[81:82]
	v_mul_f64 v[94:95], v[120:121], v[36:37]
	v_mul_f64 v[77:78], v[112:113], v[60:61]
	;; [unrolled: 1-line block ×5, first 2 shown]
	v_fma_f64 v[30:31], v[91:92], v[30:31], -v[83:84]
	v_fma_f64 v[46:47], v[122:123], v[46:47], v[85:86]
	v_fma_f64 v[36:37], v[118:119], v[36:37], v[89:90]
	v_add_f64 v[79:80], v[0:1], v[4:5]
	v_add_f64 v[89:90], v[0:1], -v[4:5]
	v_fma_f64 v[48:49], v[122:123], v[48:49], -v[87:88]
	v_add_f64 v[108:109], v[8:9], v[12:13]
	v_add_f64 v[81:82], v[2:3], v[6:7]
	v_fma_f64 v[24:25], v[100:101], v[24:25], v[64:65]
	v_fma_f64 v[50:51], v[96:97], v[50:51], v[68:69]
	;; [unrolled: 1-line block ×3, first 2 shown]
	v_fma_f64 v[42:43], v[104:105], v[42:43], -v[62:63]
	v_fma_f64 v[26:27], v[100:101], v[26:27], -v[66:67]
	v_fma_f64 v[52:53], v[96:97], v[52:53], -v[70:71]
	v_add_f64 v[62:63], v[16:17], v[8:9]
	v_add_f64 v[64:65], v[10:11], -v[14:15]
	v_add_f64 v[66:67], v[18:19], v[10:11]
	v_add_f64 v[68:69], v[10:11], v[14:15]
	v_add_f64 v[72:73], v[2:3], -v[6:7]
	v_fma_f64 v[38:39], v[118:119], v[38:39], -v[94:95]
	v_fma_f64 v[58:59], v[110:111], v[58:59], v[77:78]
	v_add_f64 v[77:78], v[8:9], -v[0:1]
	v_add_f64 v[91:92], v[10:11], -v[2:3]
	;; [unrolled: 1-line block ×3, first 2 shown]
	v_fma_f64 v[54:55], v[114:115], v[54:55], v[98:99]
	v_fma_f64 v[70:71], v[79:80], -0.5, v[16:17]
	v_add_f64 v[79:80], v[8:9], -v[12:13]
	v_add_f64 v[8:9], v[0:1], -v[8:9]
	v_fma_f64 v[16:17], v[108:109], -0.5, v[16:17]
	v_fma_f64 v[81:82], v[81:82], -0.5, v[18:19]
	v_add_f64 v[83:84], v[12:13], -v[4:5]
	v_add_f64 v[85:86], v[24:25], v[50:51]
	v_add_f64 v[95:96], v[40:41], v[28:29]
	v_add_f64 v[87:88], v[4:5], -v[12:13]
	v_add_f64 v[93:94], v[14:15], -v[6:7]
	v_add_f64 v[99:100], v[20:21], v[40:41]
	v_add_f64 v[0:1], v[62:63], v[0:1]
	v_fma_f64 v[56:57], v[114:115], v[56:57], -v[102:103]
	v_add_f64 v[2:3], v[66:67], v[2:3]
	v_fma_f64 v[18:19], v[68:69], -0.5, v[18:19]
	v_fma_f64 v[60:61], v[110:111], v[60:61], -v[106:107]
	v_add_f64 v[101:102], v[42:43], -v[30:31]
	v_add_f64 v[103:104], v[26:27], -v[52:53]
	v_add_f64 v[115:116], v[26:27], v[52:53]
	v_add_f64 v[97:98], v[6:7], -v[14:15]
	v_add_f64 v[113:114], v[22:23], v[42:43]
	v_add_f64 v[105:106], v[40:41], -v[24:25]
	v_fma_f64 v[62:63], v[64:65], s[6:7], v[70:71]
	v_fma_f64 v[66:67], v[64:65], s[14:15], v[70:71]
	v_add_f64 v[109:110], v[24:25], -v[40:41]
	v_fma_f64 v[68:69], v[72:73], s[14:15], v[16:17]
	v_fma_f64 v[16:17], v[72:73], s[6:7], v[16:17]
	;; [unrolled: 1-line block ×4, first 2 shown]
	v_fma_f64 v[85:86], v[85:86], -0.5, v[20:21]
	v_fma_f64 v[20:21], v[95:96], -0.5, v[20:21]
	v_add_f64 v[77:78], v[77:78], v[83:84]
	v_add_f64 v[83:84], v[8:9], v[87:88]
	;; [unrolled: 1-line block ×5, first 2 shown]
	v_fma_f64 v[4:5], v[89:90], s[6:7], v[18:19]
	v_fma_f64 v[18:19], v[89:90], s[14:15], v[18:19]
	v_add_f64 v[40:41], v[40:41], -v[28:29]
	v_add_f64 v[91:92], v[38:39], v[56:57]
	v_add_f64 v[93:94], v[48:49], v[60:61]
	v_add_f64 v[107:108], v[28:29], -v[50:51]
	v_add_f64 v[97:98], v[10:11], v[97:98]
	v_add_f64 v[111:112], v[50:51], -v[28:29]
	v_fma_f64 v[6:7], v[72:73], s[4:5], v[62:63]
	v_fma_f64 v[8:9], v[72:73], s[12:13], v[66:67]
	v_add_f64 v[117:118], v[48:49], -v[38:39]
	v_fma_f64 v[62:63], v[64:65], s[4:5], v[68:69]
	v_fma_f64 v[16:17], v[64:65], s[12:13], v[16:17]
	;; [unrolled: 1-line block ×3, first 2 shown]
	v_add_f64 v[70:71], v[42:43], v[30:31]
	v_fma_f64 v[66:67], v[89:90], s[4:5], v[81:82]
	v_add_f64 v[68:69], v[99:100], v[24:25]
	v_add_f64 v[81:82], v[36:37], v[54:55]
	;; [unrolled: 1-line block ×3, first 2 shown]
	v_fma_f64 v[72:73], v[101:102], s[6:7], v[85:86]
	v_fma_f64 v[85:86], v[101:102], s[14:15], v[85:86]
	;; [unrolled: 1-line block ×3, first 2 shown]
	v_fma_f64 v[99:100], v[115:116], -0.5, v[22:23]
	v_add_f64 v[24:25], v[24:25], -v[50:51]
	v_add_f64 v[0:1], v[0:1], v[12:13]
	v_add_f64 v[2:3], v[2:3], v[14:15]
	v_fma_f64 v[14:15], v[79:80], s[12:13], v[4:5]
	v_fma_f64 v[20:21], v[103:104], s[6:7], v[20:21]
	;; [unrolled: 1-line block ×3, first 2 shown]
	v_add_f64 v[79:80], v[38:39], -v[56:57]
	v_fma_f64 v[4:5], v[77:78], s[0:1], v[6:7]
	v_fma_f64 v[8:9], v[77:78], s[0:1], v[8:9]
	v_add_f64 v[119:120], v[60:61], -v[56:57]
	v_fma_f64 v[12:13], v[83:84], s[0:1], v[62:63]
	v_fma_f64 v[16:17], v[83:84], s[0:1], v[16:17]
	v_add_f64 v[83:84], v[34:35], v[48:49]
	v_fma_f64 v[22:23], v[70:71], -0.5, v[22:23]
	v_fma_f64 v[10:11], v[87:88], s[0:1], v[66:67]
	v_add_f64 v[62:63], v[68:69], v[50:51]
	v_add_f64 v[66:67], v[32:33], v[46:47]
	v_fma_f64 v[68:69], v[81:82], -0.5, v[32:33]
	v_fma_f64 v[32:33], v[89:90], -0.5, v[32:33]
	v_add_f64 v[89:90], v[113:114], v[26:27]
	v_fma_f64 v[50:51], v[103:104], s[4:5], v[72:73]
	v_fma_f64 v[72:73], v[103:104], s[12:13], v[85:86]
	;; [unrolled: 1-line block ×3, first 2 shown]
	v_fma_f64 v[85:86], v[91:92], -0.5, v[34:35]
	v_fma_f64 v[34:35], v[93:94], -0.5, v[34:35]
	v_fma_f64 v[93:94], v[40:41], s[14:15], v[99:100]
	v_add_f64 v[95:96], v[42:43], -v[26:27]
	v_add_f64 v[103:104], v[30:31], -v[52:53]
	v_fma_f64 v[6:7], v[87:88], s[0:1], v[64:65]
	v_add_f64 v[64:65], v[105:106], v[107:108]
	v_add_f64 v[70:71], v[48:49], -v[60:61]
	v_add_f64 v[91:92], v[36:37], -v[54:55]
	v_fma_f64 v[99:100], v[40:41], s[6:7], v[99:100]
	v_add_f64 v[26:27], v[26:27], -v[42:43]
	v_add_f64 v[42:43], v[52:53], -v[30:31]
	v_fma_f64 v[105:106], v[24:25], s[6:7], v[22:23]
	v_fma_f64 v[22:23], v[24:25], s[14:15], v[22:23]
	v_add_f64 v[81:82], v[109:110], v[111:112]
	v_add_f64 v[87:88], v[46:47], -v[58:59]
	v_add_f64 v[66:67], v[66:67], v[36:37]
	v_add_f64 v[109:110], v[46:47], -v[36:37]
	;; [unrolled: 2-line block ×3, first 2 shown]
	v_fma_f64 v[113:114], v[79:80], s[14:15], v[32:33]
	v_fma_f64 v[32:33], v[79:80], s[6:7], v[32:33]
	v_add_f64 v[36:37], v[36:37], -v[46:47]
	v_add_f64 v[46:47], v[54:55], -v[58:59]
	v_fma_f64 v[89:90], v[24:25], s[12:13], v[93:94]
	v_add_f64 v[83:84], v[83:84], v[38:39]
	v_add_f64 v[93:94], v[95:96], v[103:104]
	v_add_f64 v[38:39], v[38:39], -v[48:49]
	v_add_f64 v[48:49], v[56:57], -v[60:61]
	v_fma_f64 v[107:108], v[70:71], s[6:7], v[68:69]
	v_fma_f64 v[68:69], v[70:71], s[14:15], v[68:69]
	;; [unrolled: 1-line block ×6, first 2 shown]
	v_add_f64 v[42:43], v[26:27], v[42:43]
	v_fma_f64 v[101:102], v[101:102], s[12:13], v[20:21]
	v_fma_f64 v[40:41], v[40:41], s[4:5], v[22:23]
	;; [unrolled: 1-line block ×4, first 2 shown]
	v_add_f64 v[20:21], v[62:63], v[28:29]
	v_add_f64 v[22:23], v[52:53], v[30:31]
	v_fma_f64 v[24:25], v[64:65], s[0:1], v[50:51]
	v_fma_f64 v[115:116], v[87:88], s[14:15], v[85:86]
	;; [unrolled: 1-line block ×3, first 2 shown]
	v_add_f64 v[54:55], v[66:67], v[54:55]
	v_add_f64 v[103:104], v[109:110], v[111:112]
	;; [unrolled: 1-line block ×3, first 2 shown]
	v_fma_f64 v[26:27], v[93:94], s[0:1], v[89:90]
	v_fma_f64 v[28:29], v[64:65], s[0:1], v[72:73]
	v_add_f64 v[111:112], v[38:39], v[48:49]
	v_fma_f64 v[66:67], v[79:80], s[4:5], v[107:108]
	v_fma_f64 v[68:69], v[79:80], s[12:13], v[68:69]
	;; [unrolled: 1-line block ×11, first 2 shown]
	ds_write_b128 v182, v[0:3]
	ds_write_b128 v182, v[4:7] offset:1456
	ds_write_b128 v182, v[12:15] offset:2912
	;; [unrolled: 1-line block ×9, first 2 shown]
	buffer_load_dword v0, off, s[48:51], 0 offset:588 ; 4-byte Folded Reload
	v_add_f64 v[56:57], v[83:84], v[56:57]
	v_fma_f64 v[83:84], v[91:92], s[12:13], v[115:116]
	v_add_f64 v[107:108], v[117:118], v[119:120]
	v_fma_f64 v[85:86], v[91:92], s[4:5], v[85:86]
	;; [unrolled: 2-line block ×3, first 2 shown]
	v_fma_f64 v[54:55], v[105:106], s[0:1], v[79:80]
	v_fma_f64 v[58:59], v[105:106], s[0:1], v[70:71]
	;; [unrolled: 1-line block ×3, first 2 shown]
	s_mov_b32 s5, 0x3febb67a
	v_add_f64 v[42:43], v[56:57], v[60:61]
	v_fma_f64 v[56:57], v[111:112], s[0:1], v[109:110]
	v_fma_f64 v[48:49], v[107:108], s[0:1], v[83:84]
	;; [unrolled: 1-line block ×4, first 2 shown]
	s_mov_b32 s0, 0xe8584caa
	s_mov_b32 s1, 0xbfebb67a
	;; [unrolled: 1-line block ×3, first 2 shown]
	s_waitcnt vmcnt(0)
	ds_write_b128 v0, v[40:43] offset:14560
	ds_write_b128 v0, v[46:49] offset:16016
	;; [unrolled: 1-line block ×5, first 2 shown]
	s_waitcnt lgkmcnt(0)
	s_barrier
	buffer_gl0_inv
	ds_read_b128 v[0:3], v182 offset:7280
	ds_read_b128 v[4:7], v182 offset:14560
	;; [unrolled: 1-line block ×4, first 2 shown]
	s_clause 0x7
	buffer_load_dword v50, off, s[48:51], 0 offset:524
	buffer_load_dword v51, off, s[48:51], 0 offset:528
	;; [unrolled: 1-line block ×8, first 2 shown]
	ds_read_b128 v[16:19], v182 offset:8736
	ds_read_b128 v[20:23], v182 offset:10192
	ds_read_b128 v[24:27], v182 offset:17472
	ds_read_b128 v[28:31], v182 offset:18928
	ds_read_b128 v[32:35], v182 offset:11648
	s_waitcnt vmcnt(4) lgkmcnt(8)
	v_mul_f64 v[36:37], v[52:53], v[2:3]
	s_waitcnt vmcnt(0) lgkmcnt(7)
	v_mul_f64 v[38:39], v[56:57], v[6:7]
	v_mul_f64 v[40:41], v[52:53], v[0:1]
	;; [unrolled: 1-line block ×3, first 2 shown]
	v_fma_f64 v[46:47], v[50:51], v[0:1], v[36:37]
	v_fma_f64 v[48:49], v[54:55], v[4:5], v[38:39]
	ds_read_b128 v[36:39], v182 offset:13104
	v_fma_f64 v[50:51], v[50:51], v[2:3], -v[40:41]
	ds_read_b128 v[0:3], v182 offset:20384
	s_clause 0xb
	buffer_load_dword v91, off, s[48:51], 0 offset:592
	buffer_load_dword v92, off, s[48:51], 0 offset:596
	;; [unrolled: 1-line block ×12, first 2 shown]
	v_fma_f64 v[52:53], v[54:55], v[6:7], -v[42:43]
	v_add_f64 v[81:82], v[46:47], v[48:49]
	v_add_f64 v[85:86], v[50:51], v[52:53]
	s_waitcnt vmcnt(8) lgkmcnt(6)
	v_mul_f64 v[54:55], v[93:94], v[18:19]
	s_waitcnt vmcnt(4)
	v_mul_f64 v[56:57], v[97:98], v[10:11]
	v_mul_f64 v[60:61], v[97:98], v[8:9]
	s_waitcnt vmcnt(0) lgkmcnt(5)
	v_mul_f64 v[62:63], v[103:104], v[22:23]
	v_mul_f64 v[64:65], v[103:104], v[20:21]
	s_clause 0x3
	buffer_load_dword v97, off, s[48:51], 0 offset:624
	buffer_load_dword v98, off, s[48:51], 0 offset:628
	buffer_load_dword v99, off, s[48:51], 0 offset:632
	buffer_load_dword v100, off, s[48:51], 0 offset:636
	ds_read_b128 v[4:7], v182
	s_clause 0x3
	buffer_load_dword v103, off, s[48:51], 0 offset:656
	buffer_load_dword v104, off, s[48:51], 0 offset:660
	;; [unrolled: 1-line block ×4, first 2 shown]
	v_mul_f64 v[58:59], v[93:94], v[16:17]
	v_fma_f64 v[54:55], v[91:92], v[16:17], v[54:55]
	v_fma_f64 v[56:57], v[95:96], v[8:9], v[56:57]
	v_fma_f64 v[60:61], v[95:96], v[10:11], -v[60:61]
	v_fma_f64 v[62:63], v[101:102], v[20:21], v[62:63]
	v_fma_f64 v[64:65], v[101:102], v[22:23], -v[64:65]
	s_waitcnt lgkmcnt(0)
	v_add_f64 v[8:9], v[4:5], v[46:47]
	v_fma_f64 v[10:11], v[81:82], -0.5, v[4:5]
	v_add_f64 v[22:23], v[6:7], v[50:51]
	v_fma_f64 v[58:59], v[91:92], v[18:19], -v[58:59]
	v_add_f64 v[18:19], v[50:51], -v[52:53]
	v_add_f64 v[8:9], v[8:9], v[48:49]
	v_fma_f64 v[20:21], v[18:19], s[4:5], v[10:11]
	s_waitcnt vmcnt(4)
	v_mul_f64 v[66:67], v[99:100], v[26:27]
	v_mul_f64 v[68:69], v[99:100], v[24:25]
	s_waitcnt vmcnt(0)
	v_mul_f64 v[70:71], v[105:106], v[34:35]
	v_mul_f64 v[72:73], v[105:106], v[32:33]
	s_clause 0x7
	buffer_load_dword v105, off, s[48:51], 0 offset:672
	buffer_load_dword v106, off, s[48:51], 0 offset:676
	;; [unrolled: 1-line block ×8, first 2 shown]
	ds_read_b128 v[40:43], v182 offset:1456
	v_fma_f64 v[66:67], v[97:98], v[24:25], v[66:67]
	v_fma_f64 v[68:69], v[97:98], v[26:27], -v[68:69]
	v_fma_f64 v[26:27], v[103:104], v[32:33], v[70:71]
	v_fma_f64 v[32:33], v[103:104], v[34:35], -v[72:73]
	v_fma_f64 v[24:25], v[85:86], -0.5, v[6:7]
	s_waitcnt vmcnt(4)
	v_mul_f64 v[77:78], v[107:108], v[30:31]
	v_mul_f64 v[79:80], v[107:108], v[28:29]
	s_clause 0x3
	buffer_load_dword v107, off, s[48:51], 0 offset:688
	buffer_load_dword v108, off, s[48:51], 0 offset:692
	;; [unrolled: 1-line block ×4, first 2 shown]
	s_waitcnt vmcnt(4)
	v_mul_f64 v[83:84], v[113:114], v[38:39]
	v_mul_f64 v[89:90], v[113:114], v[36:37]
	v_fma_f64 v[70:71], v[105:106], v[28:29], v[77:78]
	v_fma_f64 v[72:73], v[105:106], v[30:31], -v[79:80]
	v_add_f64 v[30:31], v[46:47], -v[48:49]
	v_fma_f64 v[28:29], v[111:112], v[36:37], v[83:84]
	v_fma_f64 v[34:35], v[111:112], v[38:39], -v[89:90]
	s_waitcnt lgkmcnt(0)
	v_add_f64 v[36:37], v[40:41], v[54:55]
	v_add_f64 v[38:39], v[54:55], v[56:57]
	v_add_f64 v[46:47], v[58:59], v[60:61]
	v_add_f64 v[48:49], v[62:63], v[66:67]
	v_add_f64 v[79:80], v[64:65], v[68:69]
	v_add_f64 v[81:82], v[26:27], v[70:71]
	v_add_f64 v[83:84], v[32:33], v[72:73]
	v_add_f64 v[85:86], v[32:33], -v[72:73]
	v_add_f64 v[89:90], v[26:27], -v[70:71]
	v_add_f64 v[91:92], v[12:13], v[28:29]
	v_add_f64 v[95:96], v[14:15], v[34:35]
	s_waitcnt vmcnt(0)
	v_mul_f64 v[87:88], v[109:110], v[2:3]
	v_mul_f64 v[16:17], v[109:110], v[0:1]
	v_fma_f64 v[50:51], v[107:108], v[0:1], v[87:88]
	v_fma_f64 v[77:78], v[107:108], v[2:3], -v[16:17]
	ds_read_b128 v[0:3], v182 offset:2912
	ds_read_b128 v[4:7], v182 offset:4368
	v_fma_f64 v[16:17], v[18:19], s[0:1], v[10:11]
	v_add_f64 v[10:11], v[22:23], v[52:53]
	v_fma_f64 v[18:19], v[30:31], s[4:5], v[24:25]
	v_fma_f64 v[22:23], v[30:31], s[0:1], v[24:25]
	v_add_f64 v[24:25], v[36:37], v[56:57]
	v_fma_f64 v[36:37], v[38:39], -0.5, v[40:41]
	v_add_f64 v[40:41], v[42:43], v[58:59]
	v_add_f64 v[38:39], v[58:59], -v[60:61]
	v_fma_f64 v[42:43], v[46:47], -0.5, v[42:43]
	v_add_f64 v[46:47], v[54:55], -v[56:57]
	v_add_f64 v[56:57], v[64:65], -v[68:69]
	s_waitcnt lgkmcnt(1)
	v_add_f64 v[54:55], v[0:1], v[62:63]
	v_add_f64 v[52:53], v[28:29], v[50:51]
	;; [unrolled: 1-line block ×4, first 2 shown]
	v_fma_f64 v[48:49], v[48:49], -0.5, v[0:1]
	v_fma_f64 v[64:65], v[79:80], -0.5, v[2:3]
	v_add_f64 v[62:63], v[62:63], -v[66:67]
	s_waitcnt lgkmcnt(0)
	v_add_f64 v[79:80], v[4:5], v[26:27]
	v_add_f64 v[87:88], v[6:7], v[32:33]
	v_fma_f64 v[81:82], v[81:82], -0.5, v[4:5]
	v_fma_f64 v[83:84], v[83:84], -0.5, v[6:7]
	v_add_f64 v[93:94], v[34:35], -v[77:78]
	v_add_f64 v[99:100], v[28:29], -v[50:51]
	v_add_f64 v[26:27], v[40:41], v[60:61]
	v_fma_f64 v[0:1], v[38:39], s[0:1], v[36:37]
	v_fma_f64 v[2:3], v[46:47], s[4:5], v[42:43]
	;; [unrolled: 1-line block ×4, first 2 shown]
	v_add_f64 v[50:51], v[91:92], v[50:51]
	v_fma_f64 v[52:53], v[52:53], -0.5, v[12:13]
	v_fma_f64 v[97:98], v[30:31], -0.5, v[14:15]
	v_add_f64 v[12:13], v[54:55], v[66:67]
	v_add_f64 v[14:15], v[58:59], v[68:69]
	v_fma_f64 v[28:29], v[56:57], s[0:1], v[48:49]
	v_fma_f64 v[30:31], v[62:63], s[4:5], v[64:65]
	;; [unrolled: 1-line block ×4, first 2 shown]
	v_add_f64 v[36:37], v[79:80], v[70:71]
	v_add_f64 v[38:39], v[87:88], v[72:73]
	v_fma_f64 v[40:41], v[85:86], s[0:1], v[81:82]
	v_fma_f64 v[42:43], v[89:90], s[4:5], v[83:84]
	;; [unrolled: 1-line block ×6, first 2 shown]
	v_add_f64 v[52:53], v[95:96], v[77:78]
	v_fma_f64 v[56:57], v[99:100], s[4:5], v[97:98]
	v_fma_f64 v[60:61], v[99:100], s[0:1], v[97:98]
	ds_write_b128 v182, v[8:11]
	ds_write_b128 v183, v[16:19] offset:7280
	ds_write_b128 v183, v[20:23] offset:14560
	;; [unrolled: 1-line block ×14, first 2 shown]
	s_waitcnt lgkmcnt(0)
	s_barrier
	buffer_gl0_inv
	ds_read_b128 v[0:3], v182
	ds_read_b128 v[4:7], v182 offset:1680
	ds_read_b128 v[8:11], v182 offset:3360
	s_clause 0x5
	buffer_load_dword v34, off, s[48:51], 0 offset:80
	buffer_load_dword v35, off, s[48:51], 0 offset:84
	;; [unrolled: 1-line block ×6, first 2 shown]
	s_mov_b32 s4, 0x18018018
	s_mov_b32 s5, 0x3f480180
	s_mul_hi_u32 s1, s8, 0x69
	s_waitcnt vmcnt(2) lgkmcnt(2)
	v_mul_f64 v[16:17], v[36:37], v[2:3]
	v_mul_f64 v[18:19], v[36:37], v[0:1]
	s_clause 0x3
	buffer_load_dword v36, off, s[48:51], 0 offset:96
	buffer_load_dword v37, off, s[48:51], 0 offset:100
	;; [unrolled: 1-line block ×4, first 2 shown]
	s_waitcnt vmcnt(5)
	v_mov_b32_e32 v30, v12
	s_waitcnt vmcnt(4)
	ds_read_b128 v[12:15], v182 offset:5040
	v_mad_u64_u32 v[20:21], null, s10, v30, 0
	v_fma_f64 v[16:17], v[34:35], v[0:1], v[16:17]
	v_fma_f64 v[18:19], v[34:35], v[2:3], -v[18:19]
	s_waitcnt vmcnt(0) lgkmcnt(2)
	v_mul_f64 v[22:23], v[38:39], v[6:7]
	v_mul_f64 v[24:25], v[38:39], v[4:5]
	s_clause 0x4
	buffer_load_dword v38, off, s[48:51], 0 offset:272
	buffer_load_dword v39, off, s[48:51], 0 offset:276
	;; [unrolled: 1-line block ×5, first 2 shown]
	ds_read_b128 v[0:3], v182 offset:6720
	s_clause 0x3
	buffer_load_dword v50, off, s[48:51], 0 offset:256
	buffer_load_dword v51, off, s[48:51], 0 offset:260
	;; [unrolled: 1-line block ×4, first 2 shown]
	v_mad_u64_u32 v[30:31], null, s11, v30, v[21:22]
	v_fma_f64 v[22:23], v[36:37], v[4:5], v[22:23]
	v_fma_f64 v[24:25], v[36:37], v[6:7], -v[24:25]
	v_mul_f64 v[4:5], v[16:17], s[4:5]
	v_mul_f64 v[6:7], v[18:19], s[4:5]
	v_mov_b32_e32 v21, v30
	v_lshlrev_b64 v[20:21], 4, v[20:21]
	v_mul_f64 v[16:17], v[22:23], s[4:5]
	v_mul_f64 v[18:19], v[24:25], s[4:5]
	s_waitcnt vmcnt(5) lgkmcnt(2)
	v_mul_f64 v[26:27], v[40:41], v[10:11]
	v_mul_f64 v[28:29], v[40:41], v[8:9]
	s_waitcnt vmcnt(4)
	v_mad_u64_u32 v[31:32], null, s8, v33, 0
	s_waitcnt vmcnt(0) lgkmcnt(1)
	v_mul_f64 v[35:36], v[52:53], v[12:13]
	v_mov_b32_e32 v30, v32
	v_mad_u64_u32 v[32:33], null, s9, v33, v[30:31]
	v_mul_f64 v[33:34], v[52:53], v[14:15]
	v_fma_f64 v[26:27], v[38:39], v[8:9], v[26:27]
	v_fma_f64 v[28:29], v[38:39], v[10:11], -v[28:29]
	ds_read_b128 v[8:11], v182 offset:8400
	s_clause 0x3
	buffer_load_dword v46, off, s[48:51], 0 offset:240
	buffer_load_dword v47, off, s[48:51], 0 offset:244
	;; [unrolled: 1-line block ×4, first 2 shown]
	v_add_co_u32 v39, s0, s2, v20
	v_lshlrev_b64 v[30:31], 4, v[31:32]
	v_add_co_ci_u32_e64 v40, s0, s3, v21, s0
	s_mul_i32 s0, s9, 0x69
	s_mul_i32 s2, s8, 0x69
	s_add_i32 s3, s1, s0
	v_add_co_u32 v30, s0, v39, v30
	v_add_co_ci_u32_e64 v31, s0, v40, v31, s0
	s_lshl_b64 s[2:3], s[2:3], 4
	v_add_co_u32 v32, s0, v30, s2
	v_mul_f64 v[20:21], v[26:27], s[4:5]
	v_mul_f64 v[22:23], v[28:29], s[4:5]
	v_fma_f64 v[26:27], v[50:51], v[12:13], v[33:34]
	v_fma_f64 v[28:29], v[50:51], v[14:15], -v[35:36]
	ds_read_b128 v[12:15], v182 offset:10080
	s_clause 0x3
	buffer_load_dword v54, off, s[48:51], 0 offset:176
	buffer_load_dword v55, off, s[48:51], 0 offset:180
	;; [unrolled: 1-line block ×4, first 2 shown]
	v_add_co_ci_u32_e64 v33, s0, s3, v31, s0
	v_add_co_u32 v36, s0, v32, s2
	global_store_dwordx4 v[30:31], v[4:7], off
	v_mul_f64 v[4:5], v[26:27], s[4:5]
	v_mul_f64 v[6:7], v[28:29], s[4:5]
	s_waitcnt vmcnt(4) lgkmcnt(2)
	v_mul_f64 v[37:38], v[48:49], v[2:3]
	v_mul_f64 v[24:25], v[48:49], v[0:1]
	v_fma_f64 v[34:35], v[46:47], v[0:1], v[37:38]
	v_add_co_ci_u32_e64 v37, s0, s3, v33, s0
	v_add_co_u32 v52, s0, v36, s2
	v_fma_f64 v[40:41], v[46:47], v[2:3], -v[24:25]
	ds_read_b128 v[0:3], v182 offset:11760
	global_store_dwordx4 v[32:33], v[16:19], off
	global_store_dwordx4 v[36:37], v[20:23], off
	s_clause 0x3
	buffer_load_dword v58, off, s[48:51], 0 offset:160
	buffer_load_dword v59, off, s[48:51], 0 offset:164
	;; [unrolled: 1-line block ×4, first 2 shown]
	ds_read_b128 v[16:19], v182 offset:13440
	ds_read_b128 v[20:23], v182 offset:15120
	;; [unrolled: 1-line block ×3, first 2 shown]
	v_add_co_ci_u32_e64 v53, s0, s3, v37, s0
	ds_read_b128 v[28:31], v182 offset:18480
	ds_read_b128 v[36:39], v182 offset:20160
	s_clause 0x3
	buffer_load_dword v78, off, s[48:51], 0 offset:144
	buffer_load_dword v79, off, s[48:51], 0 offset:148
	;; [unrolled: 1-line block ×4, first 2 shown]
	s_waitcnt vmcnt(8) lgkmcnt(7)
	v_mul_f64 v[42:43], v[56:57], v[10:11]
	v_mul_f64 v[46:47], v[56:57], v[8:9]
	s_clause 0x7
	buffer_load_dword v74, off, s[48:51], 0 offset:128
	buffer_load_dword v75, off, s[48:51], 0 offset:132
	;; [unrolled: 1-line block ×8, first 2 shown]
	v_mul_f64 v[32:33], v[34:35], s[4:5]
	v_mul_f64 v[34:35], v[40:41], s[4:5]
	v_fma_f64 v[8:9], v[54:55], v[8:9], v[42:43]
	v_fma_f64 v[10:11], v[54:55], v[10:11], -v[46:47]
	v_add_co_u32 v46, s0, v52, s2
	v_add_co_ci_u32_e64 v47, s0, s3, v53, s0
	s_waitcnt vmcnt(12) lgkmcnt(6)
	v_mul_f64 v[48:49], v[60:61], v[14:15]
	v_mul_f64 v[50:51], v[60:61], v[12:13]
	s_waitcnt vmcnt(8) lgkmcnt(5)
	v_mul_f64 v[40:41], v[80:81], v[2:3]
	v_mul_f64 v[42:43], v[80:81], v[0:1]
	s_clause 0x3
	buffer_load_dword v80, off, s[48:51], 0 offset:192
	buffer_load_dword v81, off, s[48:51], 0 offset:196
	;; [unrolled: 1-line block ×4, first 2 shown]
	s_waitcnt vmcnt(8) lgkmcnt(4)
	v_mul_f64 v[54:55], v[76:77], v[18:19]
	v_mul_f64 v[56:57], v[76:77], v[16:17]
	v_fma_f64 v[12:13], v[58:59], v[12:13], v[48:49]
	v_fma_f64 v[14:15], v[58:59], v[14:15], -v[50:51]
	s_waitcnt vmcnt(4) lgkmcnt(3)
	v_mul_f64 v[48:49], v[72:73], v[22:23]
	v_mul_f64 v[50:51], v[72:73], v[20:21]
	v_fma_f64 v[16:17], v[74:75], v[16:17], v[54:55]
	v_fma_f64 v[18:19], v[74:75], v[18:19], -v[56:57]
	v_fma_f64 v[20:21], v[70:71], v[20:21], v[48:49]
	v_fma_f64 v[22:23], v[70:71], v[22:23], -v[50:51]
	s_waitcnt vmcnt(0) lgkmcnt(2)
	v_mul_f64 v[58:59], v[82:83], v[26:27]
	v_mul_f64 v[60:61], v[82:83], v[24:25]
	s_clause 0x3
	buffer_load_dword v82, off, s[48:51], 0 offset:208
	buffer_load_dword v83, off, s[48:51], 0 offset:212
	;; [unrolled: 1-line block ×4, first 2 shown]
	v_fma_f64 v[24:25], v[80:81], v[24:25], v[58:59]
	v_fma_f64 v[26:27], v[80:81], v[26:27], -v[60:61]
	s_waitcnt vmcnt(0) lgkmcnt(1)
	v_mul_f64 v[62:63], v[84:85], v[30:31]
	v_mul_f64 v[64:65], v[84:85], v[28:29]
	s_clause 0x3
	buffer_load_dword v84, off, s[48:51], 0 offset:224
	buffer_load_dword v85, off, s[48:51], 0 offset:228
	;; [unrolled: 1-line block ×4, first 2 shown]
	global_store_dwordx4 v[52:53], v[4:7], off
	global_store_dwordx4 v[46:47], v[32:35], off
	v_mul_f64 v[4:5], v[8:9], s[4:5]
	v_mul_f64 v[6:7], v[10:11], s[4:5]
	v_fma_f64 v[8:9], v[78:79], v[0:1], v[40:41]
	v_fma_f64 v[10:11], v[78:79], v[2:3], -v[42:43]
	v_add_co_u32 v32, s0, v46, s2
	v_add_co_ci_u32_e64 v33, s0, s3, v47, s0
	v_mul_f64 v[0:1], v[12:13], s[4:5]
	v_mul_f64 v[2:3], v[14:15], s[4:5]
	;; [unrolled: 1-line block ×8, first 2 shown]
	v_fma_f64 v[28:29], v[82:83], v[28:29], v[62:63]
	v_fma_f64 v[30:31], v[82:83], v[30:31], -v[64:65]
	global_store_dwordx4 v[32:33], v[4:7], off
	v_mul_f64 v[8:9], v[8:9], s[4:5]
	v_mul_f64 v[10:11], v[10:11], s[4:5]
	;; [unrolled: 1-line block ×4, first 2 shown]
	s_waitcnt vmcnt(0) lgkmcnt(0)
	v_mul_f64 v[66:67], v[86:87], v[38:39]
	v_mul_f64 v[68:69], v[86:87], v[36:37]
	v_fma_f64 v[34:35], v[84:85], v[36:37], v[66:67]
	v_fma_f64 v[36:37], v[84:85], v[38:39], -v[68:69]
	v_add_co_u32 v38, s0, v32, s2
	v_add_co_ci_u32_e64 v39, s0, s3, v33, s0
	v_add_co_u32 v40, s0, v38, s2
	v_add_co_ci_u32_e64 v41, s0, s3, v39, s0
	global_store_dwordx4 v[38:39], v[0:3], off
	v_add_co_u32 v42, s0, v40, s2
	v_add_co_ci_u32_e64 v43, s0, s3, v41, s0
	global_store_dwordx4 v[40:41], v[8:11], off
	v_mul_f64 v[28:29], v[34:35], s[4:5]
	v_add_co_u32 v34, s0, v42, s2
	v_add_co_ci_u32_e64 v35, s0, s3, v43, s0
	v_mul_f64 v[30:31], v[36:37], s[4:5]
	v_add_co_u32 v4, s0, v34, s2
	v_add_co_ci_u32_e64 v5, s0, s3, v35, s0
	v_add_co_u32 v2, s0, v4, s2
	v_add_co_ci_u32_e64 v3, s0, s3, v5, s0
	;; [unrolled: 2-line block ×3, first 2 shown]
	global_store_dwordx4 v[42:43], v[12:15], off
	global_store_dwordx4 v[34:35], v[16:19], off
	;; [unrolled: 1-line block ×5, first 2 shown]
	s_and_b32 exec_lo, exec_lo, vcc_lo
	s_cbranch_execz .LBB0_23
; %bb.22:
	global_load_dwordx4 v[2:5], v[44:45], off offset:1456
	ds_read_b128 v[6:9], v183 offset:1456
	v_mad_u64_u32 v[12:13], null, 0xffffb6f0, s8, v[0:1]
	s_mul_i32 s0, s9, 0xffffb6f0
	s_sub_i32 s0, s0, s8
	v_add_nc_u32_e32 v13, s0, v13
	s_waitcnt vmcnt(0) lgkmcnt(0)
	v_mul_f64 v[10:11], v[8:9], v[4:5]
	v_mul_f64 v[4:5], v[6:7], v[4:5]
	v_fma_f64 v[6:7], v[6:7], v[2:3], v[10:11]
	v_fma_f64 v[4:5], v[2:3], v[8:9], -v[4:5]
	v_mul_f64 v[2:3], v[6:7], s[4:5]
	v_mul_f64 v[4:5], v[4:5], s[4:5]
	global_store_dwordx4 v[12:13], v[2:5], off
	s_clause 0x1
	buffer_load_dword v0, off, s[48:51], 0 offset:60
	buffer_load_dword v1, off, s[48:51], 0 offset:64
	s_waitcnt vmcnt(0)
	global_load_dwordx4 v[0:3], v[0:1], off offset:1088
	ds_read_b128 v[4:7], v182 offset:3136
	ds_read_b128 v[8:11], v182 offset:4816
	s_waitcnt vmcnt(0) lgkmcnt(1)
	v_mul_f64 v[14:15], v[6:7], v[2:3]
	v_mul_f64 v[2:3], v[4:5], v[2:3]
	v_fma_f64 v[4:5], v[4:5], v[0:1], v[14:15]
	v_fma_f64 v[2:3], v[0:1], v[6:7], -v[2:3]
	v_mul_f64 v[0:1], v[4:5], s[4:5]
	v_mul_f64 v[2:3], v[2:3], s[4:5]
	v_add_co_u32 v4, vcc_lo, v12, s2
	v_add_co_ci_u32_e32 v5, vcc_lo, s3, v13, vcc_lo
	v_add_co_u32 v12, vcc_lo, v4, s2
	v_add_co_ci_u32_e32 v13, vcc_lo, s3, v5, vcc_lo
	global_store_dwordx4 v[4:5], v[0:3], off
	s_clause 0x1
	buffer_load_dword v0, off, s[48:51], 0 offset:52
	buffer_load_dword v1, off, s[48:51], 0 offset:56
	s_waitcnt vmcnt(0)
	global_load_dwordx4 v[0:3], v[0:1], off offset:720
	s_waitcnt vmcnt(0) lgkmcnt(0)
	v_mul_f64 v[6:7], v[10:11], v[2:3]
	v_mul_f64 v[2:3], v[8:9], v[2:3]
	v_fma_f64 v[6:7], v[8:9], v[0:1], v[6:7]
	v_fma_f64 v[2:3], v[0:1], v[10:11], -v[2:3]
	v_mul_f64 v[0:1], v[6:7], s[4:5]
	v_mul_f64 v[2:3], v[2:3], s[4:5]
	global_store_dwordx4 v[12:13], v[0:3], off
	s_clause 0x1
	buffer_load_dword v16, off, s[48:51], 0 offset:12
	buffer_load_dword v17, off, s[48:51], 0 offset:16
	s_waitcnt vmcnt(0)
	global_load_dwordx4 v[0:3], v[16:17], off offset:352
	ds_read_b128 v[4:7], v182 offset:6496
	ds_read_b128 v[8:11], v182 offset:8176
	s_waitcnt vmcnt(0) lgkmcnt(1)
	v_mul_f64 v[14:15], v[6:7], v[2:3]
	v_mul_f64 v[2:3], v[4:5], v[2:3]
	v_fma_f64 v[4:5], v[4:5], v[0:1], v[14:15]
	v_fma_f64 v[2:3], v[0:1], v[6:7], -v[2:3]
	v_mul_f64 v[0:1], v[4:5], s[4:5]
	v_mul_f64 v[2:3], v[2:3], s[4:5]
	v_add_co_u32 v4, vcc_lo, v12, s2
	v_add_co_ci_u32_e32 v5, vcc_lo, s3, v13, vcc_lo
	v_add_co_u32 v12, vcc_lo, v4, s2
	v_add_co_ci_u32_e32 v13, vcc_lo, s3, v5, vcc_lo
	global_store_dwordx4 v[4:5], v[0:3], off
	global_load_dwordx4 v[0:3], v[16:17], off offset:2032
	s_waitcnt vmcnt(0) lgkmcnt(0)
	v_mul_f64 v[6:7], v[10:11], v[2:3]
	v_mul_f64 v[2:3], v[8:9], v[2:3]
	v_fma_f64 v[6:7], v[8:9], v[0:1], v[6:7]
	v_fma_f64 v[2:3], v[0:1], v[10:11], -v[2:3]
	v_mul_f64 v[0:1], v[6:7], s[4:5]
	v_mul_f64 v[2:3], v[2:3], s[4:5]
	global_store_dwordx4 v[12:13], v[0:3], off
	s_clause 0x1
	buffer_load_dword v0, off, s[48:51], 0 offset:4
	buffer_load_dword v1, off, s[48:51], 0 offset:8
	s_waitcnt vmcnt(0)
	global_load_dwordx4 v[0:3], v[0:1], off offset:1664
	ds_read_b128 v[4:7], v182 offset:9856
	ds_read_b128 v[8:11], v182 offset:11536
	s_waitcnt vmcnt(0) lgkmcnt(1)
	v_mul_f64 v[14:15], v[6:7], v[2:3]
	v_mul_f64 v[2:3], v[4:5], v[2:3]
	v_fma_f64 v[4:5], v[4:5], v[0:1], v[14:15]
	v_fma_f64 v[2:3], v[0:1], v[6:7], -v[2:3]
	v_mul_f64 v[0:1], v[4:5], s[4:5]
	v_mul_f64 v[2:3], v[2:3], s[4:5]
	v_add_co_u32 v4, vcc_lo, v12, s2
	v_add_co_ci_u32_e32 v5, vcc_lo, s3, v13, vcc_lo
	v_add_co_u32 v12, vcc_lo, v4, s2
	v_add_co_ci_u32_e32 v13, vcc_lo, s3, v5, vcc_lo
	global_store_dwordx4 v[4:5], v[0:3], off
	s_clause 0x1
	buffer_load_dword v0, off, s[48:51], 0 offset:44
	buffer_load_dword v1, off, s[48:51], 0 offset:48
	s_waitcnt vmcnt(0)
	global_load_dwordx4 v[0:3], v[0:1], off offset:1296
	s_waitcnt vmcnt(0) lgkmcnt(0)
	v_mul_f64 v[6:7], v[10:11], v[2:3]
	v_mul_f64 v[2:3], v[8:9], v[2:3]
	v_fma_f64 v[6:7], v[8:9], v[0:1], v[6:7]
	v_fma_f64 v[2:3], v[0:1], v[10:11], -v[2:3]
	v_mul_f64 v[0:1], v[6:7], s[4:5]
	v_mul_f64 v[2:3], v[2:3], s[4:5]
	global_store_dwordx4 v[12:13], v[0:3], off
	s_clause 0x1
	buffer_load_dword v0, off, s[48:51], 0 offset:36
	buffer_load_dword v1, off, s[48:51], 0 offset:40
	s_waitcnt vmcnt(0)
	global_load_dwordx4 v[0:3], v[0:1], off offset:928
	ds_read_b128 v[4:7], v182 offset:13216
	ds_read_b128 v[8:11], v182 offset:14896
	s_waitcnt vmcnt(0) lgkmcnt(1)
	v_mul_f64 v[14:15], v[6:7], v[2:3]
	v_mul_f64 v[2:3], v[4:5], v[2:3]
	v_fma_f64 v[4:5], v[4:5], v[0:1], v[14:15]
	v_fma_f64 v[2:3], v[0:1], v[6:7], -v[2:3]
	v_mul_f64 v[0:1], v[4:5], s[4:5]
	v_mul_f64 v[2:3], v[2:3], s[4:5]
	v_add_co_u32 v4, vcc_lo, v12, s2
	v_add_co_ci_u32_e32 v5, vcc_lo, s3, v13, vcc_lo
	v_add_co_u32 v12, vcc_lo, v4, s2
	v_add_co_ci_u32_e32 v13, vcc_lo, s3, v5, vcc_lo
	global_store_dwordx4 v[4:5], v[0:3], off
	s_clause 0x1
	buffer_load_dword v0, off, s[48:51], 0 offset:20
	buffer_load_dword v1, off, s[48:51], 0 offset:24
	s_waitcnt vmcnt(0)
	global_load_dwordx4 v[0:3], v[0:1], off offset:560
	s_waitcnt vmcnt(0) lgkmcnt(0)
	v_mul_f64 v[6:7], v[10:11], v[2:3]
	v_mul_f64 v[2:3], v[8:9], v[2:3]
	v_fma_f64 v[6:7], v[8:9], v[0:1], v[6:7]
	v_fma_f64 v[2:3], v[0:1], v[10:11], -v[2:3]
	v_mul_f64 v[0:1], v[6:7], s[4:5]
	v_mul_f64 v[2:3], v[2:3], s[4:5]
	global_store_dwordx4 v[12:13], v[0:3], off
	s_clause 0x1
	buffer_load_dword v16, off, s[48:51], 0 offset:288
	buffer_load_dword v17, off, s[48:51], 0 offset:292
	s_waitcnt vmcnt(0)
	global_load_dwordx4 v[0:3], v[16:17], off offset:192
	ds_read_b128 v[4:7], v182 offset:16576
	ds_read_b128 v[8:11], v182 offset:18256
	s_waitcnt vmcnt(0) lgkmcnt(1)
	v_mul_f64 v[14:15], v[6:7], v[2:3]
	v_mul_f64 v[2:3], v[4:5], v[2:3]
	v_fma_f64 v[4:5], v[4:5], v[0:1], v[14:15]
	v_fma_f64 v[2:3], v[0:1], v[6:7], -v[2:3]
	v_mul_f64 v[0:1], v[4:5], s[4:5]
	v_mul_f64 v[2:3], v[2:3], s[4:5]
	v_add_co_u32 v4, vcc_lo, v12, s2
	v_add_co_ci_u32_e32 v5, vcc_lo, s3, v13, vcc_lo
	v_add_co_u32 v12, vcc_lo, v4, s2
	v_add_co_ci_u32_e32 v13, vcc_lo, s3, v5, vcc_lo
	global_store_dwordx4 v[4:5], v[0:3], off
	global_load_dwordx4 v[0:3], v[16:17], off offset:1872
	s_waitcnt vmcnt(0) lgkmcnt(0)
	v_mul_f64 v[6:7], v[10:11], v[2:3]
	v_mul_f64 v[2:3], v[8:9], v[2:3]
	v_fma_f64 v[6:7], v[8:9], v[0:1], v[6:7]
	v_fma_f64 v[2:3], v[0:1], v[10:11], -v[2:3]
	v_mul_f64 v[0:1], v[6:7], s[4:5]
	v_mul_f64 v[2:3], v[2:3], s[4:5]
	global_store_dwordx4 v[12:13], v[0:3], off
	s_clause 0x1
	buffer_load_dword v0, off, s[48:51], 0 offset:28
	buffer_load_dword v1, off, s[48:51], 0 offset:32
	s_waitcnt vmcnt(0)
	global_load_dwordx4 v[0:3], v[0:1], off offset:1504
	ds_read_b128 v[4:7], v182 offset:19936
	ds_read_b128 v[8:11], v182 offset:21616
	s_waitcnt vmcnt(0) lgkmcnt(1)
	v_mul_f64 v[14:15], v[6:7], v[2:3]
	v_mul_f64 v[2:3], v[4:5], v[2:3]
	v_fma_f64 v[4:5], v[4:5], v[0:1], v[14:15]
	v_fma_f64 v[2:3], v[0:1], v[6:7], -v[2:3]
	v_mul_f64 v[0:1], v[4:5], s[4:5]
	v_mul_f64 v[2:3], v[2:3], s[4:5]
	v_add_co_u32 v4, vcc_lo, v12, s2
	v_add_co_ci_u32_e32 v5, vcc_lo, s3, v13, vcc_lo
	global_store_dwordx4 v[4:5], v[0:3], off
	s_clause 0x1
	buffer_load_dword v0, off, s[48:51], 0 offset:892
	buffer_load_dword v1, off, s[48:51], 0 offset:896
	v_add_co_u32 v4, vcc_lo, v4, s2
	v_add_co_ci_u32_e32 v5, vcc_lo, s3, v5, vcc_lo
	s_waitcnt vmcnt(0)
	global_load_dwordx4 v[0:3], v[0:1], off offset:1136
	s_waitcnt vmcnt(0) lgkmcnt(0)
	v_mul_f64 v[6:7], v[10:11], v[2:3]
	v_mul_f64 v[2:3], v[8:9], v[2:3]
	v_fma_f64 v[6:7], v[8:9], v[0:1], v[6:7]
	v_fma_f64 v[2:3], v[0:1], v[10:11], -v[2:3]
	v_mul_f64 v[0:1], v[6:7], s[4:5]
	v_mul_f64 v[2:3], v[2:3], s[4:5]
	global_store_dwordx4 v[4:5], v[0:3], off
.LBB0_23:
	s_endpgm
	.section	.rodata,"a",@progbits
	.p2align	6, 0x0
	.amdhsa_kernel bluestein_single_back_len1365_dim1_dp_op_CI_CI
		.amdhsa_group_segment_fixed_size 43680
		.amdhsa_private_segment_fixed_size 928
		.amdhsa_kernarg_size 104
		.amdhsa_user_sgpr_count 6
		.amdhsa_user_sgpr_private_segment_buffer 1
		.amdhsa_user_sgpr_dispatch_ptr 0
		.amdhsa_user_sgpr_queue_ptr 0
		.amdhsa_user_sgpr_kernarg_segment_ptr 1
		.amdhsa_user_sgpr_dispatch_id 0
		.amdhsa_user_sgpr_flat_scratch_init 0
		.amdhsa_user_sgpr_private_segment_size 0
		.amdhsa_wavefront_size32 1
		.amdhsa_uses_dynamic_stack 0
		.amdhsa_system_sgpr_private_segment_wavefront_offset 1
		.amdhsa_system_sgpr_workgroup_id_x 1
		.amdhsa_system_sgpr_workgroup_id_y 0
		.amdhsa_system_sgpr_workgroup_id_z 0
		.amdhsa_system_sgpr_workgroup_info 0
		.amdhsa_system_vgpr_workitem_id 0
		.amdhsa_next_free_vgpr 256
		.amdhsa_next_free_sgpr 52
		.amdhsa_reserve_vcc 1
		.amdhsa_reserve_flat_scratch 0
		.amdhsa_float_round_mode_32 0
		.amdhsa_float_round_mode_16_64 0
		.amdhsa_float_denorm_mode_32 3
		.amdhsa_float_denorm_mode_16_64 3
		.amdhsa_dx10_clamp 1
		.amdhsa_ieee_mode 1
		.amdhsa_fp16_overflow 0
		.amdhsa_workgroup_processor_mode 1
		.amdhsa_memory_ordered 1
		.amdhsa_forward_progress 0
		.amdhsa_shared_vgpr_count 0
		.amdhsa_exception_fp_ieee_invalid_op 0
		.amdhsa_exception_fp_denorm_src 0
		.amdhsa_exception_fp_ieee_div_zero 0
		.amdhsa_exception_fp_ieee_overflow 0
		.amdhsa_exception_fp_ieee_underflow 0
		.amdhsa_exception_fp_ieee_inexact 0
		.amdhsa_exception_int_div_zero 0
	.end_amdhsa_kernel
	.text
.Lfunc_end0:
	.size	bluestein_single_back_len1365_dim1_dp_op_CI_CI, .Lfunc_end0-bluestein_single_back_len1365_dim1_dp_op_CI_CI
                                        ; -- End function
	.section	.AMDGPU.csdata,"",@progbits
; Kernel info:
; codeLenInByte = 40080
; NumSgprs: 54
; NumVgprs: 256
; ScratchSize: 928
; MemoryBound: 0
; FloatMode: 240
; IeeeMode: 1
; LDSByteSize: 43680 bytes/workgroup (compile time only)
; SGPRBlocks: 6
; VGPRBlocks: 31
; NumSGPRsForWavesPerEU: 54
; NumVGPRsForWavesPerEU: 256
; Occupancy: 4
; WaveLimiterHint : 1
; COMPUTE_PGM_RSRC2:SCRATCH_EN: 1
; COMPUTE_PGM_RSRC2:USER_SGPR: 6
; COMPUTE_PGM_RSRC2:TRAP_HANDLER: 0
; COMPUTE_PGM_RSRC2:TGID_X_EN: 1
; COMPUTE_PGM_RSRC2:TGID_Y_EN: 0
; COMPUTE_PGM_RSRC2:TGID_Z_EN: 0
; COMPUTE_PGM_RSRC2:TIDIG_COMP_CNT: 0
	.text
	.p2alignl 6, 3214868480
	.fill 48, 4, 3214868480
	.type	__hip_cuid_4071e631f8f270c0,@object ; @__hip_cuid_4071e631f8f270c0
	.section	.bss,"aw",@nobits
	.globl	__hip_cuid_4071e631f8f270c0
__hip_cuid_4071e631f8f270c0:
	.byte	0                               ; 0x0
	.size	__hip_cuid_4071e631f8f270c0, 1

	.ident	"AMD clang version 19.0.0git (https://github.com/RadeonOpenCompute/llvm-project roc-6.4.0 25133 c7fe45cf4b819c5991fe208aaa96edf142730f1d)"
	.section	".note.GNU-stack","",@progbits
	.addrsig
	.addrsig_sym __hip_cuid_4071e631f8f270c0
	.amdgpu_metadata
---
amdhsa.kernels:
  - .args:
      - .actual_access:  read_only
        .address_space:  global
        .offset:         0
        .size:           8
        .value_kind:     global_buffer
      - .actual_access:  read_only
        .address_space:  global
        .offset:         8
        .size:           8
        .value_kind:     global_buffer
      - .actual_access:  read_only
        .address_space:  global
        .offset:         16
        .size:           8
        .value_kind:     global_buffer
      - .actual_access:  read_only
        .address_space:  global
        .offset:         24
        .size:           8
        .value_kind:     global_buffer
      - .actual_access:  read_only
        .address_space:  global
        .offset:         32
        .size:           8
        .value_kind:     global_buffer
      - .offset:         40
        .size:           8
        .value_kind:     by_value
      - .address_space:  global
        .offset:         48
        .size:           8
        .value_kind:     global_buffer
      - .address_space:  global
        .offset:         56
        .size:           8
        .value_kind:     global_buffer
      - .address_space:  global
        .offset:         64
        .size:           8
        .value_kind:     global_buffer
      - .address_space:  global
        .offset:         72
        .size:           8
        .value_kind:     global_buffer
      - .offset:         80
        .size:           4
        .value_kind:     by_value
      - .address_space:  global
        .offset:         88
        .size:           8
        .value_kind:     global_buffer
      - .address_space:  global
        .offset:         96
        .size:           8
        .value_kind:     global_buffer
    .group_segment_fixed_size: 43680
    .kernarg_segment_align: 8
    .kernarg_segment_size: 104
    .language:       OpenCL C
    .language_version:
      - 2
      - 0
    .max_flat_workgroup_size: 182
    .name:           bluestein_single_back_len1365_dim1_dp_op_CI_CI
    .private_segment_fixed_size: 928
    .sgpr_count:     54
    .sgpr_spill_count: 0
    .symbol:         bluestein_single_back_len1365_dim1_dp_op_CI_CI.kd
    .uniform_work_group_size: 1
    .uses_dynamic_stack: false
    .vgpr_count:     256
    .vgpr_spill_count: 231
    .wavefront_size: 32
    .workgroup_processor_mode: 1
amdhsa.target:   amdgcn-amd-amdhsa--gfx1030
amdhsa.version:
  - 1
  - 2
...

	.end_amdgpu_metadata
